;; amdgpu-corpus repo=ROCm/rocFFT kind=compiled arch=gfx950 opt=O3
	.text
	.amdgcn_target "amdgcn-amd-amdhsa--gfx950"
	.amdhsa_code_object_version 6
	.protected	bluestein_single_back_len272_dim1_dp_op_CI_CI ; -- Begin function bluestein_single_back_len272_dim1_dp_op_CI_CI
	.globl	bluestein_single_back_len272_dim1_dp_op_CI_CI
	.p2align	8
	.type	bluestein_single_back_len272_dim1_dp_op_CI_CI,@function
bluestein_single_back_len272_dim1_dp_op_CI_CI: ; @bluestein_single_back_len272_dim1_dp_op_CI_CI
; %bb.0:
	s_load_dwordx4 s[4:7], s[0:1], 0x28
	v_mul_u32_u24_e32 v1, 0xf10, v0
	v_lshrrev_b32_e32 v2, 16, v1
	v_mad_u64_u32 v[196:197], s[2:3], s2, 7, v[2:3]
	v_mov_b32_e32 v197, 0
	s_waitcnt lgkmcnt(0)
	v_cmp_gt_u64_e32 vcc, s[4:5], v[196:197]
	s_and_saveexec_b64 s[2:3], vcc
	s_cbranch_execz .LBB0_10
; %bb.1:
	s_load_dwordx4 s[8:11], s[0:1], 0x0
	s_load_dwordx4 s[16:19], s[0:1], 0x18
	s_load_dwordx2 s[12:13], s[0:1], 0x38
	v_mul_lo_u16_e32 v1, 17, v2
	s_mov_b32 s0, 0x24924925
	v_sub_u16_e32 v232, v0, v1
	v_mul_hi_u32 v0, v196, s0
	s_waitcnt lgkmcnt(0)
	s_load_dwordx4 s[0:3], s[16:17], 0x0
	v_sub_u32_e32 v1, v196, v0
	v_lshrrev_b32_e32 v1, 1, v1
	v_add_u32_e32 v0, v1, v0
	v_lshrrev_b32_e32 v0, 2, v0
	v_mul_lo_u32 v34, v0, 7
	s_waitcnt lgkmcnt(0)
	v_mad_u64_u32 v[0:1], s[14:15], s2, v196, 0
	v_mov_b32_e32 v2, v1
	v_mad_u64_u32 v[2:3], s[2:3], s3, v196, v[2:3]
	v_mov_b32_e32 v1, v2
	;; [unrolled: 2-line block ×3, first 2 shown]
	v_mov_b32_e32 v4, s6
	v_mov_b32_e32 v5, s7
	v_mad_u64_u32 v[6:7], s[2:3], s1, v232, v[6:7]
	v_mov_b32_e32 v3, v6
	v_lshl_add_u64 v[0:1], v[0:1], 4, v[4:5]
	v_lshl_add_u64 v[0:1], v[2:3], 4, v[0:1]
	v_lshlrev_b32_e32 v198, 4, v232
	v_mov_b32_e32 v30, 0x110
	global_load_dwordx4 v[64:67], v[0:1], off
	global_load_dwordx4 v[54:57], v198, s[8:9]
	v_mad_u64_u32 v[0:1], s[2:3], s0, v30, v[0:1]
	s_mulk_i32 s1, 0x110
	v_add_u32_e32 v1, s1, v1
	s_load_dwordx4 s[4:7], s[18:19], 0x0
	global_load_dwordx4 v[128:131], v198, s[8:9] offset:272
	global_load_dwordx4 v[68:71], v[0:1], off
	v_mad_u64_u32 v[0:1], s[2:3], s0, v30, v[0:1]
	v_add_u32_e32 v1, s1, v1
	global_load_dwordx4 v[72:75], v[0:1], off
	global_load_dwordx4 v[96:99], v198, s[8:9] offset:544
	v_mad_u64_u32 v[0:1], s[2:3], s0, v30, v[0:1]
	v_add_u32_e32 v1, s1, v1
	global_load_dwordx4 v[132:135], v198, s[8:9] offset:816
	global_load_dwordx4 v[76:79], v[0:1], off
	v_mad_u64_u32 v[0:1], s[2:3], s0, v30, v[0:1]
	v_add_u32_e32 v1, s1, v1
	global_load_dwordx4 v[80:83], v[0:1], off
	global_load_dwordx4 v[100:103], v198, s[8:9] offset:1088
	v_mad_u64_u32 v[0:1], s[2:3], s0, v30, v[0:1]
	v_add_u32_e32 v1, s1, v1
	global_load_dwordx4 v[84:87], v[0:1], off
	global_load_dwordx4 v[124:127], v198, s[8:9] offset:1360
	;; [unrolled: 4-line block ×12, first 2 shown]
	v_sub_u32_e32 v0, v196, v34
	v_mul_u32_u24_e32 v0, 0x110, v0
	v_lshlrev_b32_e32 v233, 4, v0
	v_add_u32_e32 v197, v198, v233
	s_mov_b32 s0, 0x667f3bcd
	s_mov_b32 s1, 0xbfe6a09e
	;; [unrolled: 1-line block ×12, first 2 shown]
	v_or_b32_e32 v0, v0, v232
	s_waitcnt vmcnt(30)
	v_mul_f64 v[34:35], v[66:67], v[56:57]
	v_mul_f64 v[36:37], v[64:65], v[56:57]
	v_fmac_f64_e32 v[34:35], v[64:65], v[54:55]
	v_fma_f64 v[36:37], v[66:67], v[54:55], -v[36:37]
	ds_write_b128 v197, v[34:37]
	v_accvgpr_write_b32 a16, v54
	s_waitcnt vmcnt(28)
	v_mul_f64 v[34:35], v[70:71], v[130:131]
	v_mul_f64 v[36:37], v[68:69], v[130:131]
	v_fmac_f64_e32 v[34:35], v[68:69], v[128:129]
	v_fma_f64 v[36:37], v[70:71], v[128:129], -v[36:37]
	ds_write_b128 v197, v[34:37] offset:272
	s_waitcnt vmcnt(26)
	v_mul_f64 v[34:35], v[74:75], v[98:99]
	v_mul_f64 v[36:37], v[72:73], v[98:99]
	v_fmac_f64_e32 v[34:35], v[72:73], v[96:97]
	v_fma_f64 v[36:37], v[74:75], v[96:97], -v[36:37]
	ds_write_b128 v197, v[34:37] offset:544
	;; [unrolled: 6-line block ×7, first 2 shown]
	s_waitcnt vmcnt(14)
	v_mul_f64 v[34:35], v[4:5], v[52:53]
	v_fmac_f64_e32 v[34:35], v[2:3], v[50:51]
	v_mul_f64 v[2:3], v[2:3], v[52:53]
	v_fma_f64 v[36:37], v[4:5], v[50:51], -v[2:3]
	s_waitcnt vmcnt(12)
	v_mul_f64 v[2:3], v[8:9], v[118:119]
	v_mul_f64 v[4:5], v[6:7], v[118:119]
	v_fmac_f64_e32 v[2:3], v[6:7], v[116:117]
	v_fma_f64 v[4:5], v[8:9], v[116:117], -v[4:5]
	ds_write_b128 v197, v[2:5] offset:2448
	s_waitcnt vmcnt(10)
	v_mul_f64 v[2:3], v[12:13], v[48:49]
	v_mul_f64 v[4:5], v[10:11], v[48:49]
	v_fmac_f64_e32 v[2:3], v[10:11], v[46:47]
	v_fma_f64 v[4:5], v[12:13], v[46:47], -v[4:5]
	ds_write_b128 v197, v[2:5] offset:2720
	;; [unrolled: 6-line block ×7, first 2 shown]
	ds_write_b128 v197, v[2:5] offset:4080
	s_waitcnt lgkmcnt(0)
	s_barrier
	ds_read_b128 v[2:5], v197
	ds_read_b128 v[6:9], v197 offset:272
	ds_read_b128 v[10:13], v197 offset:544
	;; [unrolled: 1-line block ×15, first 2 shown]
	v_accvgpr_write_b32 a8, v46
	v_accvgpr_write_b32 a4, v42
	;; [unrolled: 1-line block ×12, first 2 shown]
	s_waitcnt lgkmcnt(7)
	v_add_f64 v[34:35], v[2:3], -v[34:35]
	v_add_f64 v[36:37], v[4:5], -v[36:37]
	s_waitcnt lgkmcnt(3)
	v_add_f64 v[38:39], v[18:19], -v[76:77]
	v_add_f64 v[40:41], v[20:21], -v[78:79]
	;; [unrolled: 1-line block ×4, first 2 shown]
	s_waitcnt lgkmcnt(1)
	v_add_f64 v[46:47], v[26:27], -v[84:85]
	v_add_f64 v[68:69], v[28:29], -v[86:87]
	v_fma_f64 v[18:19], v[18:19], 2.0, -v[38:39]
	v_fma_f64 v[20:21], v[20:21], 2.0, -v[40:41]
	;; [unrolled: 1-line block ×4, first 2 shown]
	v_add_f64 v[40:41], v[34:35], -v[40:41]
	v_add_f64 v[38:39], v[36:37], v[38:39]
	v_add_f64 v[68:69], v[42:43], -v[68:69]
	v_add_f64 v[46:47], v[44:45], v[46:47]
	v_fma_f64 v[2:3], v[2:3], 2.0, -v[34:35]
	v_fma_f64 v[4:5], v[4:5], 2.0, -v[36:37]
	;; [unrolled: 1-line block ×4, first 2 shown]
	v_add_f64 v[64:65], v[6:7], -v[64:65]
	v_add_f64 v[66:67], v[8:9], -v[66:67]
	;; [unrolled: 1-line block ×6, first 2 shown]
	s_waitcnt lgkmcnt(0)
	v_add_f64 v[78:79], v[30:31], -v[88:89]
	v_add_f64 v[80:81], v[32:33], -v[90:91]
	v_fma_f64 v[34:35], v[34:35], 2.0, -v[40:41]
	v_fma_f64 v[36:37], v[36:37], 2.0, -v[38:39]
	;; [unrolled: 1-line block ×8, first 2 shown]
	v_add_f64 v[76:77], v[64:65], -v[76:77]
	v_add_f64 v[70:71], v[66:67], v[70:71]
	v_add_f64 v[80:81], v[72:73], -v[80:81]
	v_add_f64 v[78:79], v[74:75], v[78:79]
	v_fma_f64 v[82:83], s[0:1], v[42:43], v[34:35]
	v_fma_f64 v[84:85], s[0:1], v[44:45], v[36:37]
	v_fma_f64 v[6:7], v[6:7], 2.0, -v[64:65]
	v_fma_f64 v[8:9], v[8:9], 2.0, -v[66:67]
	;; [unrolled: 1-line block ×8, first 2 shown]
	v_fmac_f64_e32 v[82:83], s[0:1], v[44:45]
	v_fmac_f64_e32 v[84:85], s[2:3], v[42:43]
	v_fma_f64 v[42:43], s[2:3], v[68:69], v[40:41]
	v_fma_f64 v[44:45], s[2:3], v[46:47], v[38:39]
	v_fmac_f64_e32 v[42:43], s[0:1], v[46:47]
	v_fmac_f64_e32 v[44:45], s[2:3], v[68:69]
	v_fma_f64 v[46:47], s[0:1], v[72:73], v[64:65]
	v_fma_f64 v[68:69], s[0:1], v[74:75], v[66:67]
	v_add_f64 v[18:19], v[2:3], -v[18:19]
	v_add_f64 v[20:21], v[4:5], -v[20:21]
	;; [unrolled: 1-line block ×8, first 2 shown]
	v_fmac_f64_e32 v[46:47], s[0:1], v[74:75]
	v_fmac_f64_e32 v[68:69], s[2:3], v[72:73]
	v_fma_f64 v[72:73], s[2:3], v[80:81], v[76:77]
	v_fma_f64 v[74:75], s[2:3], v[78:79], v[70:71]
	v_fma_f64 v[2:3], v[2:3], 2.0, -v[18:19]
	v_fma_f64 v[4:5], v[4:5], 2.0, -v[20:21]
	v_fma_f64 v[10:11], v[10:11], 2.0, -v[26:27]
	v_fma_f64 v[12:13], v[12:13], 2.0, -v[28:29]
	v_fma_f64 v[6:7], v[6:7], 2.0, -v[22:23]
	v_fma_f64 v[8:9], v[8:9], 2.0, -v[24:25]
	v_fma_f64 v[14:15], v[14:15], 2.0, -v[30:31]
	v_fma_f64 v[16:17], v[16:17], 2.0, -v[32:33]
	v_add_f64 v[28:29], v[18:19], -v[28:29]
	v_add_f64 v[26:27], v[20:21], v[26:27]
	v_add_f64 v[32:33], v[22:23], -v[32:33]
	v_add_f64 v[30:31], v[24:25], v[30:31]
	v_fmac_f64_e32 v[72:73], s[0:1], v[78:79]
	v_fmac_f64_e32 v[74:75], s[2:3], v[80:81]
	v_add_f64 v[10:11], v[2:3], -v[10:11]
	v_add_f64 v[12:13], v[4:5], -v[12:13]
	v_fma_f64 v[34:35], v[34:35], 2.0, -v[82:83]
	v_fma_f64 v[36:37], v[36:37], 2.0, -v[84:85]
	;; [unrolled: 1-line block ×6, first 2 shown]
	v_add_f64 v[14:15], v[6:7], -v[14:15]
	v_add_f64 v[16:17], v[8:9], -v[16:17]
	v_fma_f64 v[64:65], v[64:65], 2.0, -v[46:47]
	v_fma_f64 v[66:67], v[66:67], 2.0, -v[68:69]
	;; [unrolled: 1-line block ×10, first 2 shown]
	v_fma_f64 v[148:149], s[16:17], v[64:65], v[34:35]
	v_fma_f64 v[150:151], s[16:17], v[66:67], v[36:37]
	;; [unrolled: 1-line block ×12, first 2 shown]
	v_accvgpr_write_b32 a56, v128
	v_accvgpr_write_b32 a24, v96
	;; [unrolled: 1-line block ×12, first 2 shown]
	v_add_f64 v[140:141], v[2:3], -v[6:7]
	v_add_f64 v[142:143], v[4:5], -v[8:9]
	v_fmac_f64_e32 v[148:149], s[14:15], v[66:67]
	v_fmac_f64_e32 v[150:151], s[18:19], v[64:65]
	;; [unrolled: 1-line block ×6, first 2 shown]
	v_add_f64 v[168:169], v[10:11], -v[16:17]
	v_add_f64 v[170:171], v[12:13], v[14:15]
	v_fmac_f64_e32 v[176:177], s[16:17], v[68:69]
	v_fmac_f64_e32 v[178:179], s[20:21], v[46:47]
	v_fmac_f64_e32 v[184:185], s[0:1], v[30:31]
	v_fmac_f64_e32 v[186:187], s[2:3], v[32:33]
	v_fmac_f64_e32 v[188:189], s[14:15], v[74:75]
	v_fmac_f64_e32 v[190:191], s[18:19], v[72:73]
	v_accvgpr_write_b32 a17, v55
	v_accvgpr_write_b32 a18, v56
	;; [unrolled: 1-line block ×39, first 2 shown]
	v_fma_f64 v[132:133], v[2:3], 2.0, -v[140:141]
	v_fma_f64 v[134:135], v[4:5], 2.0, -v[142:143]
	;; [unrolled: 1-line block ×16, first 2 shown]
	v_lshl_add_u32 v38, v232, 8, v233
	v_cmp_gt_u16_e32 vcc, 16, v232
	v_lshlrev_b32_e32 v39, 4, v0
	s_barrier
	ds_write_b128 v38, v[132:135]
	ds_write_b128 v38, v[128:131] offset:16
	ds_write_b128 v38, v[136:139] offset:32
	;; [unrolled: 1-line block ×15, first 2 shown]
	s_waitcnt lgkmcnt(0)
	s_barrier
	s_waitcnt lgkmcnt(0)
                                        ; implicit-def: $vgpr192_vgpr193
	s_and_saveexec_b64 s[0:1], vcc
	s_cbranch_execz .LBB0_3
; %bb.2:
	ds_read_b128 v[132:135], v39
	ds_read_b128 v[128:131], v39 offset:256
	ds_read_b128 v[136:139], v39 offset:512
	;; [unrolled: 1-line block ×16, first 2 shown]
.LBB0_3:
	s_or_b64 exec, exec, s[0:1]
	v_and_b32_e32 v0, 0xf0, v198
	v_lshlrev_b32_e32 v0, 4, v0
	global_load_dwordx4 v[64:67], v0, s[10:11]
	global_load_dwordx4 v[68:71], v0, s[10:11] offset:16
	global_load_dwordx4 v[72:75], v0, s[10:11] offset:32
	;; [unrolled: 1-line block ×15, first 2 shown]
	s_mov_b32 s26, 0x5d8e7cdc
	s_mov_b32 s0, 0x370991
	;; [unrolled: 1-line block ×32, first 2 shown]
	s_waitcnt vmcnt(15) lgkmcnt(14)
	v_mul_f64 v[200:201], v[128:129], v[66:67]
	v_mul_f64 v[0:1], v[130:131], v[66:67]
	s_waitcnt vmcnt(14)
	v_mul_f64 v[202:203], v[136:137], v[70:71]
	v_fmac_f64_e32 v[200:201], v[130:131], v[64:65]
	v_mul_f64 v[2:3], v[138:139], v[70:71]
	s_waitcnt vmcnt(13) lgkmcnt(13)
	v_mul_f64 v[204:205], v[144:145], v[74:75]
	v_fma_f64 v[44:45], v[128:129], v[64:65], -v[0:1]
	v_fmac_f64_e32 v[202:203], v[138:139], v[68:69]
	v_mul_f64 v[4:5], v[146:147], v[74:75]
	s_waitcnt vmcnt(8) lgkmcnt(8)
	v_mul_f64 v[214:215], v[140:141], v[110:111]
	s_waitcnt vmcnt(7) lgkmcnt(7)
	v_mul_f64 v[216:217], v[148:149], v[126:127]
	v_fma_f64 v[46:47], v[136:137], v[68:69], -v[2:3]
	v_fmac_f64_e32 v[204:205], v[146:147], v[72:73]
	s_waitcnt vmcnt(2) lgkmcnt(2)
	v_mul_f64 v[226:227], v[184:185], v[106:107]
	s_waitcnt vmcnt(1) lgkmcnt(1)
	v_mul_f64 v[28:29], v[190:191], v[94:95]
	;; [unrolled: 2-line block ×3, first 2 shown]
	v_mul_f64 v[228:229], v[188:189], v[94:95]
	v_mul_f64 v[30:31], v[194:195], v[86:87]
	v_fmac_f64_e32 v[236:237], v[194:195], v[84:85]
	v_mul_f64 v[26:27], v[186:187], v[106:107]
	v_fmac_f64_e32 v[226:227], v[186:187], v[104:105]
	v_fma_f64 v[186:187], v[188:189], v[92:93], -v[28:29]
	v_fmac_f64_e32 v[228:229], v[190:191], v[92:93]
	v_fma_f64 v[188:189], v[192:193], v[84:85], -v[30:31]
	v_add_f64 v[194:195], v[200:201], -v[236:237]
	v_add_f64 v[254:255], v[44:45], v[188:189]
	v_add_f64 v[138:139], v[44:45], -v[188:189]
	v_mul_f64 v[52:53], v[194:195], s[26:27]
	v_add_f64 v[146:147], v[202:203], -v[228:229]
	v_mul_f64 v[14:15], v[142:143], v[110:111]
	v_mul_f64 v[16:17], v[150:151], v[126:127]
	v_fmac_f64_e32 v[214:215], v[142:143], v[108:109]
	v_fmac_f64_e32 v[216:217], v[150:151], v[124:125]
	v_add_f64 v[150:151], v[200:201], v[236:237]
	v_mul_f64 v[54:55], v[138:139], s[26:27]
	v_fma_f64 v[0:1], s[0:1], v[254:255], v[52:53]
	v_add_f64 v[190:191], v[46:47], v[186:187]
	v_add_f64 v[142:143], v[46:47], -v[186:187]
	v_mul_f64 v[56:57], v[146:147], s[14:15]
	v_fma_f64 v[48:49], v[144:145], v[72:73], -v[4:5]
	v_add_f64 v[0:1], v[132:133], v[0:1]
	v_fma_f64 v[2:3], v[150:151], s[0:1], -v[54:55]
	v_add_f64 v[136:137], v[202:203], v[228:229]
	v_mul_f64 v[58:59], v[142:143], s[14:15]
	v_fma_f64 v[4:5], s[10:11], v[190:191], v[56:57]
	v_add_f64 v[2:3], v[134:135], v[2:3]
	v_add_f64 v[4:5], v[4:5], v[0:1]
	v_fma_f64 v[0:1], v[136:137], s[10:11], -v[58:59]
	v_mul_f64 v[206:207], v[156:157], v[78:79]
	v_mul_f64 v[212:213], v[180:181], v[98:99]
	;; [unrolled: 1-line block ×3, first 2 shown]
	v_fma_f64 v[184:185], v[184:185], v[104:105], -v[26:27]
	v_add_f64 v[2:3], v[0:1], v[2:3]
	v_add_f64 v[0:1], v[204:205], -v[226:227]
	v_mul_f64 v[6:7], v[158:159], v[78:79]
	v_mul_f64 v[10:11], v[174:175], v[90:91]
	;; [unrolled: 1-line block ×5, first 2 shown]
	v_fmac_f64_e32 v[206:207], v[158:159], v[76:77]
	v_fmac_f64_e32 v[212:213], v[182:183], v[96:97]
	v_fma_f64 v[182:183], v[140:141], v[108:109], -v[14:15]
	v_fmac_f64_e32 v[224:225], v[178:179], v[116:117]
	v_add_f64 v[192:193], v[48:49], v[184:185]
	v_mul_f64 v[60:61], v[0:1], s[34:35]
	v_add_f64 v[140:141], v[48:49], -v[184:185]
	v_mul_f64 v[18:19], v[154:155], v[122:123]
	v_fma_f64 v[50:51], v[156:157], v[76:77], -v[6:7]
	v_fma_f64 v[242:243], v[172:173], v[88:89], -v[10:11]
	v_fmac_f64_e32 v[218:219], v[154:155], v[120:121]
	v_fma_f64 v[252:253], v[176:177], v[116:117], -v[24:25]
	v_fma_f64 v[6:7], s[16:17], v[192:193], v[60:61]
	v_add_f64 v[154:155], v[204:205], v[226:227]
	v_mul_f64 v[62:63], v[140:141], s[34:35]
	v_add_f64 v[10:11], v[206:207], -v[224:225]
	v_mul_f64 v[208:209], v[164:165], v[82:83]
	v_mul_f64 v[222:223], v[168:169], v[102:103]
	v_add_f64 v[4:5], v[6:7], v[4:5]
	v_fma_f64 v[6:7], v[154:155], s[16:17], -v[62:63]
	v_add_f64 v[144:145], v[50:51], v[252:253]
	v_mul_f64 v[156:157], v[10:11], s[20:21]
	v_mul_f64 v[8:9], v[166:167], v[82:83]
	;; [unrolled: 1-line block ×4, first 2 shown]
	v_fmac_f64_e32 v[208:209], v[166:167], v[80:81]
	v_fma_f64 v[246:247], v[152:153], v[120:121], -v[18:19]
	v_fmac_f64_e32 v[222:223], v[170:171], v[100:101]
	v_add_f64 v[2:3], v[6:7], v[2:3]
	v_fma_f64 v[6:7], s[18:19], v[144:145], v[156:157]
	v_add_f64 v[152:153], v[50:51], -v[252:253]
	v_fma_f64 v[230:231], v[164:165], v[80:81], -v[8:9]
	v_fma_f64 v[248:249], v[160:161], v[112:113], -v[20:21]
	;; [unrolled: 1-line block ×3, first 2 shown]
	v_add_f64 v[6:7], v[6:7], v[4:5]
	v_add_f64 v[4:5], v[206:207], v[224:225]
	v_mul_f64 v[158:159], v[152:153], s[20:21]
	v_add_f64 v[20:21], v[208:209], -v[222:223]
	v_mul_f64 v[220:221], v[160:161], v[114:115]
	v_fma_f64 v[244:245], v[148:149], v[124:125], -v[16:17]
	v_fma_f64 v[8:9], v[4:5], s[18:19], -v[158:159]
	v_add_f64 v[148:149], v[230:231], v[250:251]
	v_mul_f64 v[160:161], v[20:21], s[38:39]
	v_add_f64 v[2:3], v[8:9], v[2:3]
	v_fma_f64 v[8:9], s[22:23], v[148:149], v[160:161]
	v_mul_f64 v[210:211], v[172:173], v[90:91]
	v_fma_f64 v[180:181], v[180:181], v[96:97], -v[12:13]
	v_add_f64 v[12:13], v[8:9], v[6:7]
	v_add_f64 v[6:7], v[230:231], -v[250:251]
	v_fmac_f64_e32 v[210:211], v[174:175], v[88:89]
	v_fmac_f64_e32 v[220:221], v[162:163], v[112:113]
	v_add_f64 v[8:9], v[208:209], v[222:223]
	v_mul_f64 v[162:163], v[6:7], s[38:39]
	v_fma_f64 v[14:15], v[8:9], s[22:23], -v[162:163]
	v_add_f64 v[28:29], v[210:211], -v[220:221]
	v_add_f64 v[18:19], v[14:15], v[2:3]
	v_add_f64 v[2:3], v[242:243], v[248:249]
	v_mul_f64 v[164:165], v[28:29], s[28:29]
	v_fma_f64 v[14:15], s[24:25], v[2:3], v[164:165]
	v_add_f64 v[16:17], v[242:243], -v[248:249]
	v_add_f64 v[22:23], v[14:15], v[12:13]
	v_add_f64 v[14:15], v[210:211], v[220:221]
	v_mul_f64 v[166:167], v[16:17], s[28:29]
	v_fma_f64 v[12:13], v[14:15], s[24:25], -v[166:167]
	v_add_f64 v[32:33], v[212:213], -v[218:219]
	v_add_f64 v[18:19], v[12:13], v[18:19]
	v_add_f64 v[12:13], v[180:181], v[246:247]
	v_mul_f64 v[168:169], v[32:33], s[42:43]
	v_fma_f64 v[24:25], s[30:31], v[12:13], v[168:169]
	v_add_f64 v[26:27], v[180:181], -v[246:247]
	v_add_f64 v[30:31], v[24:25], v[22:23]
	;; [unrolled: 10-line block ×3, first 2 shown]
	v_add_f64 v[30:31], v[214:215], v[216:217]
	v_mul_f64 v[18:19], v[34:35], s[40:41]
	v_fma_f64 v[42:43], v[30:31], s[36:37], -v[18:19]
	v_add_f64 v[130:131], v[42:43], v[40:41]
	s_and_saveexec_b64 s[2:3], vcc
	s_cbranch_execz .LBB0_5
; %bb.4:
	v_accvgpr_write_b32 a90, v172
	v_mul_f64 v[176:177], v[150:151], s[36:37]
	s_mov_b32 s55, 0x3fc7851a
	s_mov_b32 s54, s40
	v_accvgpr_write_b32 a84, v168
	v_accvgpr_write_b32 a91, v173
	v_mul_f64 v[172:173], v[136:137], s[0:1]
	v_fma_f64 v[178:179], s[54:55], v[138:139], v[176:177]
	v_accvgpr_write_b32 a109, v61
	v_accvgpr_write_b32 a82, v164
	;; [unrolled: 1-line block ×3, first 2 shown]
	v_mul_f64 v[168:169], v[154:155], s[30:31]
	s_mov_b32 s47, 0x3fe0d888
	s_mov_b32 s46, s42
	v_accvgpr_write_b32 a102, v170
	v_fma_f64 v[174:175], s[26:27], v[142:143], v[172:173]
	v_add_f64 v[178:179], v[134:135], v[178:179]
	s_mov_b32 s51, 0x3fd71e95
	s_mov_b32 s50, s26
	v_accvgpr_write_b32 a107, v57
	v_accvgpr_write_b32 a108, v60
	v_mul_f64 v[60:61], v[194:195], s[40:41]
	v_accvgpr_write_b32 a115, v63
	v_accvgpr_write_b32 a80, v160
	;; [unrolled: 1-line block ×3, first 2 shown]
	v_mul_f64 v[164:165], v[4:5], s[10:11]
	v_accvgpr_write_b32 a96, v166
	v_accvgpr_write_b32 a103, v171
	v_fma_f64 v[170:171], s[46:47], v[140:141], v[168:169]
	v_add_f64 v[174:175], v[174:175], v[178:179]
	v_accvgpr_write_b32 a105, v53
	v_accvgpr_write_b32 a106, v56
	v_mul_f64 v[56:57], v[146:147], s[50:51]
	v_accvgpr_write_b32 a113, v59
	v_accvgpr_write_b32 a114, v62
	v_fma_f64 v[62:63], s[36:37], v[254:255], v[60:61]
	v_accvgpr_write_b32 a78, v156
	v_accvgpr_write_b32 a81, v161
	v_mul_f64 v[160:161], v[8:9], s[24:25]
	s_mov_b32 s53, 0x3fe9895b
	s_mov_b32 s52, s28
	v_accvgpr_write_b32 a94, v162
	v_accvgpr_write_b32 a97, v167
	v_fma_f64 v[166:167], s[14:15], v[152:153], v[164:165]
	v_add_f64 v[170:171], v[170:171], v[174:175]
	s_mov_b32 s59, 0x3fe58eea
	s_mov_b32 s58, s14
	v_accvgpr_write_b32 a87, v49
	v_accvgpr_write_b32 a104, v52
	v_mul_f64 v[52:53], v[0:1], s[42:43]
	v_accvgpr_write_b32 a111, v55
	v_accvgpr_write_b32 a112, v58
	v_fma_f64 v[58:59], s[0:1], v[190:191], v[56:57]
	v_add_f64 v[62:63], v[132:133], v[62:63]
	v_accvgpr_write_b32 a71, v45
	v_accvgpr_write_b32 a79, v157
	v_mul_f64 v[156:157], v[14:15], s[16:17]
	v_accvgpr_write_b32 a92, v158
	v_accvgpr_write_b32 a95, v163
	v_fma_f64 v[162:163], s[52:53], v[6:7], v[160:161]
	v_add_f64 v[166:167], v[166:167], v[170:171]
	v_accvgpr_write_b32 a86, v48
	v_mul_f64 v[48:49], v[10:11], s[58:59]
	v_accvgpr_write_b32 a89, v51
	v_accvgpr_write_b32 a110, v54
	v_fma_f64 v[54:55], s[30:31], v[192:193], v[52:53]
	v_add_f64 v[58:59], v[58:59], v[62:63]
	v_accvgpr_write_b32 a70, v44
	v_mul_f64 v[44:45], v[24:25], s[22:23]
	s_mov_b32 s45, 0x3feec746
	s_mov_b32 s44, s38
	v_accvgpr_write_b32 a73, v47
	v_accvgpr_write_b32 a93, v159
	v_fma_f64 v[158:159], s[34:35], v[16:17], v[156:157]
	v_add_f64 v[162:163], v[162:163], v[166:167]
	s_mov_b32 s49, 0x3feca52d
	s_mov_b32 s48, s34
	v_mul_f64 v[174:175], v[20:21], s[28:29]
	v_accvgpr_write_b32 a88, v50
	v_fma_f64 v[50:51], s[10:11], v[144:145], v[48:49]
	v_add_f64 v[54:55], v[54:55], v[58:59]
	v_mul_f64 v[40:41], v[30:31], s[18:19]
	v_accvgpr_write_b32 a72, v46
	v_fma_f64 v[46:47], s[44:45], v[26:27], v[44:45]
	v_add_f64 v[158:159], v[158:159], v[162:163]
	v_mul_f64 v[166:167], v[28:29], s[48:49]
	v_fma_f64 v[178:179], s[24:25], v[148:149], v[174:175]
	v_add_f64 v[50:51], v[50:51], v[54:55]
	v_fma_f64 v[42:43], s[20:21], v[34:35], v[40:41]
	v_add_f64 v[46:47], v[46:47], v[158:159]
	s_mov_b32 s57, 0x3fefdd0d
	s_mov_b32 s56, s20
	v_mul_f64 v[158:159], v[32:33], s[38:39]
	v_fma_f64 v[170:171], s[16:17], v[2:3], v[166:167]
	v_add_f64 v[50:51], v[178:179], v[50:51]
	v_add_f64 v[240:241], v[42:43], v[46:47]
	v_mul_f64 v[42:43], v[36:37], s[56:57]
	v_fma_f64 v[162:163], s[22:23], v[12:13], v[158:159]
	v_add_f64 v[50:51], v[170:171], v[50:51]
	v_fma_f64 v[46:47], s[18:19], v[22:23], v[42:43]
	v_add_f64 v[50:51], v[162:163], v[50:51]
	v_fmac_f64_e32 v[176:177], s[40:41], v[138:139]
	v_add_f64 v[238:239], v[46:47], v[50:51]
	v_fmac_f64_e32 v[172:173], s[50:51], v[142:143]
	;; [unrolled: 2-line block ×4, first 2 shown]
	v_add_f64 v[46:47], v[168:169], v[46:47]
	v_fma_f64 v[54:55], v[254:255], s[36:37], -v[60:61]
	v_fmac_f64_e32 v[160:161], s[28:29], v[6:7]
	v_add_f64 v[46:47], v[164:165], v[46:47]
	v_fma_f64 v[50:51], v[192:193], s[30:31], -v[52:53]
	v_fma_f64 v[52:53], v[190:191], s[0:1], -v[56:57]
	v_add_f64 v[54:55], v[132:133], v[54:55]
	v_fmac_f64_e32 v[156:157], s[48:49], v[16:17]
	v_add_f64 v[46:47], v[160:161], v[46:47]
	v_add_f64 v[52:53], v[52:53], v[54:55]
	v_fmac_f64_e32 v[44:45], s[38:39], v[26:27]
	v_add_f64 v[46:47], v[156:157], v[46:47]
	v_fma_f64 v[48:49], v[144:145], s[10:11], -v[48:49]
	v_add_f64 v[50:51], v[50:51], v[52:53]
	v_fmac_f64_e32 v[40:41], s[56:57], v[34:35]
	v_add_f64 v[44:45], v[44:45], v[46:47]
	v_fma_f64 v[46:47], v[148:149], s[24:25], -v[174:175]
	v_add_f64 v[48:49], v[48:49], v[50:51]
	v_add_f64 v[58:59], v[40:41], v[44:45]
	v_fma_f64 v[44:45], v[2:3], s[16:17], -v[166:167]
	v_add_f64 v[46:47], v[46:47], v[48:49]
	v_fma_f64 v[40:41], v[22:23], s[18:19], -v[42:43]
	v_fma_f64 v[42:43], v[12:13], s[22:23], -v[158:159]
	v_add_f64 v[44:45], v[44:45], v[46:47]
	v_mul_f64 v[160:161], v[150:151], s[30:31]
	v_add_f64 v[42:43], v[42:43], v[44:45]
	v_mul_f64 v[156:157], v[136:137], s[16:17]
	v_fma_f64 v[162:163], s[46:47], v[138:139], v[160:161]
	v_add_f64 v[56:57], v[40:41], v[42:43]
	v_accvgpr_write_b32 a77, v59
	v_mul_f64 v[60:61], v[154:155], s[18:19]
	v_fma_f64 v[158:159], s[34:35], v[142:143], v[156:157]
	v_add_f64 v[162:163], v[134:135], v[162:163]
	v_mul_f64 v[176:177], v[194:195], s[42:43]
	v_accvgpr_write_b32 a76, v58
	v_accvgpr_write_b32 a75, v57
	;; [unrolled: 1-line block ×3, first 2 shown]
	v_mul_f64 v[56:57], v[4:5], s[24:25]
	v_fma_f64 v[62:63], s[56:57], v[140:141], v[60:61]
	v_add_f64 v[158:159], v[158:159], v[162:163]
	v_mul_f64 v[172:173], v[146:147], s[48:49]
	v_fma_f64 v[178:179], s[30:31], v[254:255], v[176:177]
	v_mul_f64 v[52:53], v[8:9], s[0:1]
	v_fma_f64 v[58:59], s[28:29], v[152:153], v[56:57]
	v_add_f64 v[62:63], v[62:63], v[158:159]
	v_mul_f64 v[168:169], v[0:1], s[20:21]
	v_fma_f64 v[174:175], s[16:17], v[190:191], v[172:173]
	v_add_f64 v[178:179], v[132:133], v[178:179]
	;; [unrolled: 3-line block ×8, first 2 shown]
	v_accvgpr_write_b32 a66, v238
	v_fma_f64 v[42:43], s[44:45], v[34:35], v[40:41]
	v_add_f64 v[46:47], v[46:47], v[50:51]
	v_mul_f64 v[50:51], v[32:33], s[58:59]
	v_fma_f64 v[62:63], s[36:37], v[2:3], v[58:59]
	v_add_f64 v[162:163], v[162:163], v[166:167]
	v_accvgpr_write_b32 a67, v239
	v_accvgpr_write_b32 a68, v240
	;; [unrolled: 1-line block ×3, first 2 shown]
	v_add_f64 v[240:241], v[42:43], v[46:47]
	v_mul_f64 v[42:43], v[36:37], s[38:39]
	v_fma_f64 v[54:55], s[10:11], v[12:13], v[50:51]
	v_add_f64 v[62:63], v[62:63], v[162:163]
	v_fma_f64 v[46:47], s[22:23], v[22:23], v[42:43]
	v_add_f64 v[54:55], v[54:55], v[62:63]
	v_fmac_f64_e32 v[160:161], s[42:43], v[138:139]
	v_add_f64 v[238:239], v[46:47], v[54:55]
	v_fmac_f64_e32 v[156:157], s[48:49], v[142:143]
	;; [unrolled: 2-line block ×7, first 2 shown]
	v_add_f64 v[46:47], v[48:49], v[46:47]
	v_fma_f64 v[54:55], v[254:255], s[30:31], -v[176:177]
	v_fmac_f64_e32 v[40:41], s[38:39], v[34:35]
	v_add_f64 v[44:45], v[44:45], v[46:47]
	v_fma_f64 v[52:53], v[190:191], s[16:17], -v[172:173]
	v_add_f64 v[54:55], v[132:133], v[54:55]
	v_add_f64 v[56:57], v[40:41], v[44:45]
	v_fma_f64 v[40:41], v[22:23], s[22:23], -v[42:43]
	v_fma_f64 v[42:43], v[12:13], s[10:11], -v[50:51]
	;; [unrolled: 1-line block ×3, first 2 shown]
	v_add_f64 v[52:53], v[52:53], v[54:55]
	v_fma_f64 v[48:49], v[144:145], s[24:25], -v[164:165]
	v_add_f64 v[50:51], v[50:51], v[52:53]
	v_fma_f64 v[46:47], v[148:149], s[0:1], -v[158:159]
	;; [unrolled: 2-line block ×3, first 2 shown]
	v_add_f64 v[46:47], v[46:47], v[48:49]
	v_add_f64 v[44:45], v[44:45], v[46:47]
	v_mul_f64 v[160:161], v[150:151], s[24:25]
	v_add_f64 v[42:43], v[42:43], v[44:45]
	v_mul_f64 v[156:157], v[136:137], s[22:23]
	v_fma_f64 v[162:163], s[52:53], v[138:139], v[160:161]
	v_add_f64 v[54:55], v[40:41], v[42:43]
	v_accvgpr_write_b32 a119, v57
	v_mul_f64 v[60:61], v[154:155], s[0:1]
	v_fma_f64 v[158:159], s[38:39], v[142:143], v[156:157]
	v_add_f64 v[162:163], v[134:135], v[162:163]
	v_mul_f64 v[176:177], v[194:195], s[28:29]
	v_accvgpr_write_b32 a118, v56
	v_accvgpr_write_b32 a117, v55
	;; [unrolled: 1-line block ×3, first 2 shown]
	v_mul_f64 v[56:57], v[4:5], s[30:31]
	v_fma_f64 v[62:63], s[50:51], v[140:141], v[60:61]
	v_add_f64 v[158:159], v[158:159], v[162:163]
	v_mul_f64 v[172:173], v[146:147], s[44:45]
	v_fma_f64 v[178:179], s[24:25], v[254:255], v[176:177]
	v_mul_f64 v[52:53], v[8:9], s[18:19]
	v_fma_f64 v[58:59], s[46:47], v[152:153], v[56:57]
	v_add_f64 v[62:63], v[62:63], v[158:159]
	v_mul_f64 v[168:169], v[0:1], s[26:27]
	v_fma_f64 v[174:175], s[22:23], v[190:191], v[172:173]
	v_add_f64 v[178:179], v[132:133], v[178:179]
	;; [unrolled: 3-line block ×8, first 2 shown]
	v_accvgpr_write_b32 a98, v238
	v_fma_f64 v[42:43], s[34:35], v[34:35], v[40:41]
	v_add_f64 v[46:47], v[46:47], v[50:51]
	v_mul_f64 v[50:51], v[32:33], s[40:41]
	v_fma_f64 v[62:63], s[10:11], v[2:3], v[58:59]
	v_add_f64 v[158:159], v[158:159], v[166:167]
	v_accvgpr_write_b32 a99, v239
	v_accvgpr_write_b32 a100, v240
	;; [unrolled: 1-line block ×3, first 2 shown]
	v_add_f64 v[240:241], v[42:43], v[46:47]
	v_mul_f64 v[42:43], v[36:37], s[48:49]
	v_fma_f64 v[54:55], s[36:37], v[12:13], v[50:51]
	v_add_f64 v[62:63], v[62:63], v[158:159]
	v_fma_f64 v[46:47], s[16:17], v[22:23], v[42:43]
	v_add_f64 v[54:55], v[54:55], v[62:63]
	v_fmac_f64_e32 v[160:161], s[28:29], v[138:139]
	v_add_f64 v[238:239], v[46:47], v[54:55]
	v_fmac_f64_e32 v[156:157], s[44:45], v[142:143]
	;; [unrolled: 2-line block ×7, first 2 shown]
	v_add_f64 v[46:47], v[48:49], v[46:47]
	v_fma_f64 v[54:55], v[254:255], s[24:25], -v[176:177]
	v_fmac_f64_e32 v[40:41], s[48:49], v[34:35]
	v_add_f64 v[44:45], v[44:45], v[46:47]
	v_fma_f64 v[52:53], v[190:191], s[22:23], -v[172:173]
	v_add_f64 v[54:55], v[132:133], v[54:55]
	v_mul_f64 v[166:167], v[150:151], s[22:23]
	v_accvgpr_write_b32 a120, v238
	v_add_f64 v[158:159], v[40:41], v[44:45]
	v_fma_f64 v[40:41], v[22:23], s[16:17], -v[42:43]
	v_fma_f64 v[42:43], v[12:13], s[36:37], -v[50:51]
	;; [unrolled: 1-line block ×5, first 2 shown]
	v_add_f64 v[52:53], v[52:53], v[54:55]
	v_mul_f64 v[164:165], v[136:137], s[30:31]
	v_fma_f64 v[162:163], s[44:45], v[138:139], v[166:167]
	v_accvgpr_write_b32 a121, v239
	v_accvgpr_write_b32 a122, v240
	;; [unrolled: 1-line block ×3, first 2 shown]
	v_add_f64 v[50:51], v[50:51], v[52:53]
	v_mul_f64 v[60:61], v[154:155], s[10:11]
	v_fma_f64 v[160:161], s[42:43], v[142:143], v[164:165]
	v_add_f64 v[162:163], v[134:135], v[162:163]
	v_mov_b64_e32 v[240:241], v[18:19]
	v_mul_f64 v[18:19], v[194:195], s[38:39]
	v_accvgpr_write_b32 a124, v230
	v_add_f64 v[48:49], v[48:49], v[50:51]
	v_mul_f64 v[56:57], v[4:5], s[16:17]
	v_fma_f64 v[62:63], s[14:15], v[140:141], v[60:61]
	v_add_f64 v[160:161], v[160:161], v[162:163]
	v_mul_f64 v[176:177], v[146:147], s[46:47]
	v_accvgpr_write_b32 a125, v231
	v_fma_f64 v[230:231], s[22:23], v[254:255], v[18:19]
	v_fma_f64 v[44:45], v[2:3], s[10:11], -v[58:59]
	v_add_f64 v[46:47], v[46:47], v[48:49]
	v_mul_f64 v[52:53], v[8:9], s[36:37]
	v_fma_f64 v[58:59], s[48:49], v[152:153], v[56:57]
	v_add_f64 v[62:63], v[62:63], v[160:161]
	v_mul_f64 v[174:175], v[0:1], s[58:59]
	v_fma_f64 v[178:179], s[30:31], v[190:191], v[176:177]
	v_add_f64 v[230:231], v[132:133], v[230:231]
	v_add_f64 v[44:45], v[44:45], v[46:47]
	v_mul_f64 v[48:49], v[14:15], s[18:19]
	v_fma_f64 v[54:55], s[54:55], v[6:7], v[52:53]
	v_add_f64 v[58:59], v[58:59], v[62:63]
	v_mul_f64 v[170:171], v[10:11], s[34:35]
	v_add_f64 v[178:179], v[178:179], v[230:231]
	v_fma_f64 v[230:231], s[10:11], v[192:193], v[174:175]
	v_add_f64 v[42:43], v[42:43], v[44:45]
	v_mul_f64 v[44:45], v[24:25], s[0:1]
	v_fma_f64 v[50:51], s[20:21], v[16:17], v[48:49]
	v_add_f64 v[54:55], v[54:55], v[58:59]
	v_mul_f64 v[168:169], v[20:21], s[40:41]
	v_fma_f64 v[172:173], s[16:17], v[144:145], v[170:171]
	v_add_f64 v[178:179], v[230:231], v[178:179]
	v_add_f64 v[156:157], v[40:41], v[42:43]
	v_mul_f64 v[40:41], v[30:31], s[24:25]
	v_fma_f64 v[46:47], s[50:51], v[26:27], v[44:45]
	v_add_f64 v[50:51], v[50:51], v[54:55]
	v_mul_f64 v[58:59], v[28:29], s[56:57]
	v_fma_f64 v[160:161], s[36:37], v[148:149], v[168:169]
	v_add_f64 v[172:173], v[172:173], v[178:179]
	v_fma_f64 v[42:43], s[52:53], v[34:35], v[40:41]
	v_add_f64 v[46:47], v[46:47], v[50:51]
	v_mul_f64 v[50:51], v[32:33], s[26:27]
	v_fma_f64 v[62:63], s[18:19], v[2:3], v[58:59]
	v_add_f64 v[160:161], v[160:161], v[172:173]
	v_add_f64 v[162:163], v[42:43], v[46:47]
	v_mul_f64 v[42:43], v[36:37], s[28:29]
	v_fma_f64 v[54:55], s[0:1], v[12:13], v[50:51]
	v_add_f64 v[62:63], v[62:63], v[160:161]
	v_fma_f64 v[46:47], s[24:25], v[22:23], v[42:43]
	v_add_f64 v[54:55], v[54:55], v[62:63]
	v_fmac_f64_e32 v[166:167], s[38:39], v[138:139]
	v_add_f64 v[160:161], v[46:47], v[54:55]
	v_fmac_f64_e32 v[164:165], s[46:47], v[142:143]
	;; [unrolled: 2-line block ×7, first 2 shown]
	v_add_f64 v[46:47], v[48:49], v[46:47]
	v_fma_f64 v[18:19], v[254:255], s[22:23], -v[18:19]
	v_fmac_f64_e32 v[40:41], s[28:29], v[34:35]
	v_add_f64 v[44:45], v[44:45], v[46:47]
	v_fma_f64 v[52:53], v[190:191], s[30:31], -v[176:177]
	v_add_f64 v[18:19], v[132:133], v[18:19]
	v_mul_f64 v[172:173], v[150:151], s[18:19]
	v_add_f64 v[166:167], v[40:41], v[44:45]
	v_fma_f64 v[40:41], v[22:23], s[24:25], -v[42:43]
	v_fma_f64 v[42:43], v[12:13], s[0:1], -v[50:51]
	;; [unrolled: 1-line block ×4, first 2 shown]
	v_add_f64 v[18:19], v[52:53], v[18:19]
	v_mul_f64 v[62:63], v[136:137], s[36:37]
	v_fma_f64 v[170:171], s[56:57], v[138:139], v[172:173]
	v_fma_f64 v[44:45], v[2:3], s[18:19], -v[58:59]
	v_fma_f64 v[46:47], v[148:149], s[36:37], -v[168:169]
	v_add_f64 v[18:19], v[50:51], v[18:19]
	v_mul_f64 v[58:59], v[154:155], s[22:23]
	v_fma_f64 v[168:169], s[54:55], v[142:143], v[62:63]
	v_add_f64 v[170:171], v[134:135], v[170:171]
	v_mul_f64 v[230:231], v[194:195], s[20:21]
	v_add_f64 v[18:19], v[48:49], v[18:19]
	v_mul_f64 v[54:55], v[4:5], s[0:1]
	v_fma_f64 v[60:61], s[38:39], v[140:141], v[58:59]
	v_add_f64 v[168:169], v[168:169], v[170:171]
	v_mul_f64 v[178:179], v[146:147], s[40:41]
	v_fma_f64 v[174:175], s[18:19], v[254:255], v[230:231]
	;; [unrolled: 3-line block ×4, first 2 shown]
	v_add_f64 v[174:175], v[132:133], v[174:175]
	v_add_f64 v[18:19], v[44:45], v[18:19]
	v_mul_f64 v[46:47], v[14:15], s[30:31]
	v_fma_f64 v[52:53], s[48:49], v[6:7], v[50:51]
	v_add_f64 v[56:57], v[56:57], v[60:61]
	v_mul_f64 v[60:61], v[10:11], s[50:51]
	v_add_f64 v[168:169], v[168:169], v[174:175]
	v_fma_f64 v[174:175], s[22:23], v[192:193], v[176:177]
	v_add_f64 v[18:19], v[42:43], v[18:19]
	v_mul_f64 v[42:43], v[24:25], s[24:25]
	v_fma_f64 v[48:49], s[46:47], v[16:17], v[46:47]
	v_add_f64 v[52:53], v[52:53], v[56:57]
	v_mul_f64 v[56:57], v[20:21], s[34:35]
	v_add_f64 v[168:169], v[174:175], v[168:169]
	v_fma_f64 v[174:175], s[0:1], v[144:145], v[60:61]
	;; [unrolled: 7-line block ×3, first 2 shown]
	v_fma_f64 v[40:41], s[14:15], v[34:35], v[18:19]
	v_add_f64 v[44:45], v[44:45], v[48:49]
	v_mul_f64 v[48:49], v[32:33], s[52:53]
	v_add_f64 v[168:169], v[174:175], v[168:169]
	v_fma_f64 v[174:175], s[30:31], v[2:3], v[52:53]
	v_add_f64 v[170:171], v[40:41], v[44:45]
	v_mul_f64 v[40:41], v[36:37], s[58:59]
	v_add_f64 v[168:169], v[174:175], v[168:169]
	v_fma_f64 v[174:175], s[24:25], v[12:13], v[48:49]
	v_fma_f64 v[44:45], s[10:11], v[22:23], v[40:41]
	v_add_f64 v[168:169], v[174:175], v[168:169]
	v_fmac_f64_e32 v[172:173], s[20:21], v[138:139]
	v_add_f64 v[168:169], v[44:45], v[168:169]
	v_fmac_f64_e32 v[62:63], s[40:41], v[142:143]
	;; [unrolled: 2-line block ×8, first 2 shown]
	v_add_f64 v[42:43], v[42:43], v[44:45]
	v_add_f64 v[174:175], v[18:19], v[42:43]
	v_fma_f64 v[42:43], v[2:3], s[30:31], -v[52:53]
	v_fma_f64 v[52:53], v[254:255], s[18:19], -v[230:231]
	;; [unrolled: 1-line block ×3, first 2 shown]
	v_add_f64 v[52:53], v[132:133], v[52:53]
	v_fma_f64 v[18:19], v[22:23], s[10:11], -v[40:41]
	v_fma_f64 v[40:41], v[12:13], s[24:25], -v[48:49]
	;; [unrolled: 1-line block ×3, first 2 shown]
	v_add_f64 v[50:51], v[50:51], v[52:53]
	v_mul_f64 v[62:63], v[150:151], s[16:17]
	v_fma_f64 v[46:47], v[144:145], s[0:1], -v[60:61]
	v_add_f64 v[48:49], v[48:49], v[50:51]
	v_mul_f64 v[58:59], v[136:137], s[24:25]
	v_fma_f64 v[176:177], s[48:49], v[138:139], v[62:63]
	v_fma_f64 v[44:45], v[148:149], s[16:17], -v[56:57]
	v_add_f64 v[46:47], v[46:47], v[48:49]
	v_mul_f64 v[54:55], v[154:155], s[36:37]
	v_fma_f64 v[60:61], s[52:53], v[142:143], v[58:59]
	v_add_f64 v[176:177], v[134:135], v[176:177]
	v_mov_b32_e32 v199, v232
	v_accvgpr_write_b32 a64, v233
	v_mul_f64 v[232:233], v[194:195], s[34:35]
	v_add_f64 v[44:45], v[44:45], v[46:47]
	v_mul_f64 v[50:51], v[4:5], s[22:23]
	v_fma_f64 v[56:57], s[40:41], v[140:141], v[54:55]
	v_add_f64 v[60:61], v[60:61], v[176:177]
	v_mul_f64 v[230:231], v[146:147], s[28:29]
	v_fma_f64 v[178:179], s[16:17], v[254:255], v[232:233]
	;; [unrolled: 3-line block ×4, first 2 shown]
	v_add_f64 v[178:179], v[132:133], v[178:179]
	v_fmac_f64_e32 v[62:63], s[34:35], v[138:139]
	v_add_f64 v[40:41], v[40:41], v[42:43]
	v_mul_f64 v[42:43], v[14:15], s[0:1]
	v_fma_f64 v[48:49], s[14:15], v[6:7], v[46:47]
	v_add_f64 v[52:53], v[52:53], v[56:57]
	v_mul_f64 v[56:57], v[10:11], s[44:45]
	v_add_f64 v[176:177], v[176:177], v[178:179]
	v_fma_f64 v[178:179], s[36:37], v[192:193], v[60:61]
	v_fmac_f64_e32 v[58:59], s[28:29], v[142:143]
	v_add_f64 v[62:63], v[134:135], v[62:63]
	v_add_f64 v[172:173], v[18:19], v[40:41]
	v_mul_f64 v[18:19], v[24:25], s[18:19]
	v_fma_f64 v[44:45], s[50:51], v[16:17], v[42:43]
	v_add_f64 v[48:49], v[48:49], v[52:53]
	v_mul_f64 v[52:53], v[20:21], s[58:59]
	v_add_f64 v[176:177], v[178:179], v[176:177]
	v_fma_f64 v[178:179], s[22:23], v[144:145], v[56:57]
	v_add_f64 v[58:59], v[58:59], v[62:63]
	v_fmac_f64_e32 v[54:55], s[54:55], v[140:141]
	v_fma_f64 v[40:41], s[56:57], v[26:27], v[18:19]
	v_add_f64 v[44:45], v[44:45], v[48:49]
	v_mul_f64 v[48:49], v[28:29], s[26:27]
	v_add_f64 v[176:177], v[178:179], v[176:177]
	v_fma_f64 v[178:179], s[10:11], v[148:149], v[52:53]
	v_add_f64 v[54:55], v[54:55], v[58:59]
	v_fmac_f64_e32 v[50:51], s[44:45], v[152:153]
	v_add_f64 v[40:41], v[40:41], v[44:45]
	v_mul_f64 v[44:45], v[32:33], s[20:21]
	v_add_f64 v[176:177], v[178:179], v[176:177]
	v_fma_f64 v[178:179], s[0:1], v[2:3], v[48:49]
	v_add_f64 v[50:51], v[50:51], v[54:55]
	v_fmac_f64_e32 v[46:47], s[58:59], v[6:7]
	v_add_f64 v[176:177], v[178:179], v[176:177]
	v_fma_f64 v[178:179], s[18:19], v[12:13], v[44:45]
	v_mul_f64 v[234:235], v[30:31], s[30:31]
	v_add_f64 v[46:47], v[46:47], v[50:51]
	v_fmac_f64_e32 v[42:43], s[26:27], v[16:17]
	v_add_f64 v[176:177], v[178:179], v[176:177]
	v_fma_f64 v[178:179], s[46:47], v[34:35], v[234:235]
	v_add_f64 v[42:43], v[42:43], v[46:47]
	v_fmac_f64_e32 v[18:19], s[20:21], v[26:27]
	v_add_f64 v[178:179], v[178:179], v[40:41]
	v_mul_f64 v[40:41], v[36:37], s[42:43]
	v_add_f64 v[18:19], v[18:19], v[42:43]
	v_fmac_f64_e32 v[234:235], s[42:43], v[34:35]
	v_fma_f64 v[238:239], s[30:31], v[22:23], v[40:41]
	v_add_f64 v[42:43], v[234:235], v[18:19]
	v_fma_f64 v[18:19], v[22:23], s[30:31], -v[40:41]
	v_fma_f64 v[40:41], v[12:13], s[18:19], -v[44:45]
	;; [unrolled: 1-line block ×5, first 2 shown]
	v_mul_f64 v[54:55], v[150:151], s[0:1]
	v_fma_f64 v[46:47], v[148:149], s[10:11], -v[52:53]
	v_fma_f64 v[52:53], v[190:191], s[24:25], -v[230:231]
	v_add_f64 v[56:57], v[132:133], v[56:57]
	v_mul_f64 v[150:151], v[150:151], s[10:11]
	v_fma_f64 v[50:51], v[192:193], s[36:37], -v[60:61]
	v_add_f64 v[52:53], v[52:53], v[56:57]
	v_mul_f64 v[62:63], v[136:137], s[18:19]
	v_fma_f64 v[232:233], s[58:59], v[138:139], v[150:151]
	v_add_f64 v[50:51], v[50:51], v[52:53]
	v_mul_f64 v[60:61], v[154:155], s[24:25]
	v_fma_f64 v[230:231], s[56:57], v[142:143], v[62:63]
	v_add_f64 v[232:233], v[134:135], v[232:233]
	v_add_f64 v[48:49], v[48:49], v[50:51]
	v_mul_f64 v[56:57], v[4:5], s[36:37]
	v_add_f64 v[230:231], v[230:231], v[232:233]
	v_fma_f64 v[232:233], s[52:53], v[140:141], v[60:61]
	v_add_f64 v[46:47], v[46:47], v[48:49]
	v_mul_f64 v[52:53], v[8:9], s[30:31]
	v_add_f64 v[230:231], v[232:233], v[230:231]
	v_fma_f64 v[232:233], s[54:55], v[152:153], v[56:57]
	;; [unrolled: 4-line block ×4, first 2 shown]
	v_add_f64 v[40:41], v[18:19], v[40:41]
	v_mul_f64 v[18:19], v[30:31], s[0:1]
	v_fma_f64 v[46:47], s[34:35], v[26:27], v[48:49]
	v_add_f64 v[230:231], v[232:233], v[230:231]
	v_mul_f64 v[194:195], v[194:195], s[14:15]
	v_fmac_f64_e32 v[150:151], s[14:15], v[138:139]
	v_fma_f64 v[44:45], s[26:27], v[34:35], v[18:19]
	v_add_f64 v[46:47], v[46:47], v[230:231]
	v_mul_f64 v[146:147], v[146:147], s[20:21]
	v_fma_f64 v[230:231], s[10:11], v[254:255], v[194:195]
	v_mul_f64 v[234:235], v[4:5], s[18:19]
	v_fmac_f64_e32 v[62:63], s[20:21], v[142:143]
	v_add_f64 v[4:5], v[134:135], v[150:151]
	v_add_f64 v[46:47], v[44:45], v[46:47]
	v_mul_f64 v[0:1], v[0:1], s[28:29]
	v_fma_f64 v[44:45], s[18:19], v[190:191], v[146:147]
	v_add_f64 v[230:231], v[132:133], v[230:231]
	v_fmac_f64_e32 v[60:61], s[28:29], v[140:141]
	v_add_f64 v[4:5], v[62:63], v[4:5]
	v_mul_f64 v[10:11], v[10:11], s[40:41]
	v_add_f64 v[44:45], v[44:45], v[230:231]
	v_fma_f64 v[230:231], s[24:25], v[192:193], v[0:1]
	v_fmac_f64_e32 v[56:57], s[40:41], v[152:153]
	v_add_f64 v[4:5], v[60:61], v[4:5]
	v_mul_f64 v[20:21], v[20:21], s[46:47]
	v_add_f64 v[44:45], v[230:231], v[44:45]
	v_fma_f64 v[230:231], s[36:37], v[144:145], v[10:11]
	;; [unrolled: 5-line block ×5, first 2 shown]
	v_fmac_f64_e32 v[18:19], s[50:51], v[34:35]
	v_mul_f64 v[16:17], v[2:3], s[24:25]
	v_add_f64 v[4:5], v[48:49], v[4:5]
	v_fma_f64 v[2:3], v[2:3], s[22:23], -v[28:29]
	v_fma_f64 v[28:29], v[254:255], s[10:11], -v[194:195]
	v_add_f64 v[44:45], v[230:231], v[44:45]
	v_fma_f64 v[230:231], s[0:1], v[22:23], v[36:37]
	v_mul_f64 v[152:153], v[22:23], s[36:37]
	v_add_f64 v[4:5], v[18:19], v[4:5]
	v_fma_f64 v[18:19], v[22:23], s[0:1], -v[36:37]
	v_fma_f64 v[22:23], v[190:191], s[18:19], -v[146:147]
	v_add_f64 v[28:29], v[132:133], v[28:29]
	v_fma_f64 v[0:1], v[192:193], s[24:25], -v[0:1]
	v_add_f64 v[22:23], v[22:23], v[28:29]
	;; [unrolled: 2-line block ×4, first 2 shown]
	v_add_f64 v[0:1], v[20:21], v[0:1]
	v_mul_f64 v[6:7], v[12:13], s[30:31]
	v_fma_f64 v[12:13], v[12:13], s[16:17], -v[32:33]
	v_add_f64 v[0:1], v[2:3], v[0:1]
	v_add_f64 v[0:1], v[12:13], v[0:1]
	v_accvgpr_read_b32 v12, a96
	v_mul_f64 v[14:15], v[14:15], s[24:25]
	v_accvgpr_read_b32 v13, a97
	v_accvgpr_read_b32 v22, a110
	v_add_f64 v[12:13], v[12:13], v[14:15]
	v_accvgpr_read_b32 v14, a94
	v_accvgpr_read_b32 v20, a112
	;; [unrolled: 1-line block ×3, first 2 shown]
	v_mul_f64 v[136:137], v[136:137], s[10:11]
	v_mul_f64 v[8:9], v[8:9], s[22:23]
	v_add_f64 v[2:3], v[18:19], v[0:1]
	v_accvgpr_read_b32 v15, a95
	v_accvgpr_read_b32 v18, a114
	v_accvgpr_read_b32 v21, a113
	v_add_f64 v[22:23], v[22:23], v[54:55]
	v_mul_f64 v[154:155], v[154:155], s[16:17]
	v_add_f64 v[8:9], v[14:15], v[8:9]
	v_accvgpr_read_b32 v14, a92
	v_accvgpr_read_b32 v19, a115
	v_add_f64 v[20:21], v[20:21], v[136:137]
	v_add_f64 v[22:23], v[134:135], v[22:23]
	v_accvgpr_read_b32 v15, a93
	v_add_f64 v[18:19], v[18:19], v[154:155]
	v_add_f64 v[20:21], v[20:21], v[22:23]
	;; [unrolled: 1-line block ×4, first 2 shown]
	v_accvgpr_read_b32 v10, a102
	v_add_f64 v[14:15], v[14:15], v[18:19]
	v_mul_f64 v[24:25], v[24:25], s[30:31]
	v_accvgpr_read_b32 v11, a103
	v_add_f64 v[8:9], v[8:9], v[14:15]
	v_add_f64 v[10:11], v[10:11], v[24:25]
	;; [unrolled: 1-line block ×4, first 2 shown]
	v_accvgpr_read_b32 v10, a84
	v_accvgpr_read_b32 v11, a85
	v_add_f64 v[6:7], v[6:7], -v[10:11]
	v_accvgpr_read_b32 v10, a82
	v_accvgpr_read_b32 v20, a104
	v_mul_f64 v[58:59], v[254:255], s[0:1]
	v_accvgpr_read_b32 v11, a83
	v_accvgpr_read_b32 v18, a106
	;; [unrolled: 1-line block ×3, first 2 shown]
	v_add_f64 v[44:45], v[230:231], v[44:45]
	v_mul_f64 v[230:231], v[190:191], s[10:11]
	v_add_f64 v[10:11], v[16:17], -v[10:11]
	v_accvgpr_read_b32 v16, a108
	v_accvgpr_read_b32 v19, a107
	v_add_f64 v[20:21], v[58:59], -v[20:21]
	v_mul_f64 v[232:233], v[192:193], s[16:17]
	v_accvgpr_read_b32 v14, a78
	v_accvgpr_read_b32 v17, a109
	v_add_f64 v[18:19], v[230:231], -v[18:19]
	v_add_f64 v[20:21], v[132:133], v[20:21]
	v_mul_f64 v[34:35], v[144:145], s[18:19]
	v_accvgpr_read_b32 v12, a80
	v_accvgpr_read_b32 v15, a79
	v_add_f64 v[16:17], v[232:233], -v[16:17]
	v_add_f64 v[18:19], v[18:19], v[20:21]
	v_mul_f64 v[26:27], v[148:149], s[22:23]
	v_mul_f64 v[30:31], v[30:31], s[36:37]
	v_accvgpr_read_b32 v13, a81
	v_add_f64 v[14:15], v[34:35], -v[14:15]
	v_add_f64 v[16:17], v[16:17], v[18:19]
	v_add_f64 v[0:1], v[240:241], v[30:31]
	v_add_f64 v[12:13], v[26:27], -v[12:13]
	v_add_f64 v[14:15], v[14:15], v[16:17]
	v_add_f64 v[8:9], v[0:1], v[8:9]
	v_accvgpr_read_b32 v0, a90
	v_add_f64 v[12:13], v[12:13], v[14:15]
	v_accvgpr_read_b32 v1, a91
	v_add_f64 v[10:11], v[10:11], v[12:13]
	v_add_f64 v[0:1], v[152:153], -v[0:1]
	v_add_f64 v[6:7], v[6:7], v[10:11]
	v_add_f64 v[6:7], v[0:1], v[6:7]
	;; [unrolled: 1-line block ×18, first 2 shown]
	v_accvgpr_read_b32 v0, a70
	v_accvgpr_read_b32 v1, a71
	;; [unrolled: 1-line block ×3, first 2 shown]
	v_add_f64 v[0:1], v[132:133], v[0:1]
	v_accvgpr_read_b32 v11, a73
	v_add_f64 v[0:1], v[0:1], v[10:11]
	v_accvgpr_read_b32 v10, a86
	v_accvgpr_read_b32 v11, a87
	v_add_f64 v[0:1], v[0:1], v[10:11]
	v_accvgpr_read_b32 v10, a88
	;; [unrolled: 3-line block ×3, first 2 shown]
	v_accvgpr_read_b32 v11, a125
	v_add_f64 v[0:1], v[0:1], v[10:11]
	v_add_f64 v[0:1], v[0:1], v[242:243]
	;; [unrolled: 1-line block ×10, first 2 shown]
	v_accvgpr_read_b32 v233, a64
	v_mov_b32_e32 v232, v199
	v_add_f64 v[0:1], v[0:1], v[186:187]
	v_add_f64 v[10:11], v[0:1], v[188:189]
	v_lshl_add_u32 v0, v232, 4, v233
	v_add_f64 v[176:177], v[238:239], v[176:177]
	ds_write_b128 v39, v[10:13]
	ds_write_b128 v0, v[6:9] offset:256
	ds_write_b128 v0, v[2:5] offset:512
	;; [unrolled: 1-line block ×16, first 2 shown]
.LBB0_5:
	s_or_b64 exec, exec, s[2:3]
	v_mov_b32_e32 v199, 0
	v_lshl_add_u64 v[6:7], s[8:9], 0, v[198:199]
	s_mov_b64 s[0:1], 0x1100
	v_lshl_add_u64 v[0:1], v[6:7], 0, s[0:1]
	s_movk_i32 s0, 0x1000
	v_add_co_u32_e64 v6, s[0:1], s0, v6
	s_waitcnt lgkmcnt(0)
	s_nop 0
	v_addc_co_u32_e64 v7, s[0:1], 0, v7, s[0:1]
	s_barrier
	global_load_dwordx4 v[6:9], v[6:7], off offset:256
	ds_read_b128 v[2:5], v197
	ds_read_b128 v[132:135], v197 offset:4080
	s_mov_b32 s0, 0x667f3bcd
	s_mov_b32 s1, 0xbfe6a09e
	;; [unrolled: 1-line block ×12, first 2 shown]
	global_load_dwordx4 v[136:139], v[0:1], off offset:4080
	s_waitcnt vmcnt(1) lgkmcnt(1)
	v_mul_f64 v[10:11], v[4:5], v[8:9]
	v_mul_f64 v[12:13], v[2:3], v[8:9]
	v_fma_f64 v[10:11], v[2:3], v[6:7], -v[10:11]
	v_fmac_f64_e32 v[12:13], v[4:5], v[6:7]
	global_load_dwordx4 v[6:9], v[0:1], off offset:272
	ds_read_b128 v[2:5], v197 offset:272
	ds_write_b128 v197, v[10:13]
	s_waitcnt vmcnt(0) lgkmcnt(1)
	v_mul_f64 v[10:11], v[4:5], v[8:9]
	v_mul_f64 v[12:13], v[2:3], v[8:9]
	v_fma_f64 v[10:11], v[2:3], v[6:7], -v[10:11]
	v_fmac_f64_e32 v[12:13], v[4:5], v[6:7]
	global_load_dwordx4 v[6:9], v[0:1], off offset:544
	ds_read_b128 v[2:5], v197 offset:544
	ds_write_b128 v197, v[10:13] offset:272
	s_waitcnt vmcnt(0) lgkmcnt(1)
	v_mul_f64 v[10:11], v[4:5], v[8:9]
	v_mul_f64 v[12:13], v[2:3], v[8:9]
	v_fma_f64 v[10:11], v[2:3], v[6:7], -v[10:11]
	v_fmac_f64_e32 v[12:13], v[4:5], v[6:7]
	global_load_dwordx4 v[6:9], v[0:1], off offset:816
	ds_read_b128 v[2:5], v197 offset:816
	ds_write_b128 v197, v[10:13] offset:544
	s_waitcnt vmcnt(0) lgkmcnt(1)
	v_mul_f64 v[10:11], v[4:5], v[8:9]
	v_mul_f64 v[12:13], v[2:3], v[8:9]
	v_fma_f64 v[10:11], v[2:3], v[6:7], -v[10:11]
	v_fmac_f64_e32 v[12:13], v[4:5], v[6:7]
	global_load_dwordx4 v[6:9], v[0:1], off offset:1088
	ds_read_b128 v[2:5], v197 offset:1088
	ds_write_b128 v197, v[10:13] offset:816
	s_waitcnt vmcnt(0) lgkmcnt(1)
	v_mul_f64 v[10:11], v[4:5], v[8:9]
	v_mul_f64 v[12:13], v[2:3], v[8:9]
	v_fma_f64 v[10:11], v[2:3], v[6:7], -v[10:11]
	v_fmac_f64_e32 v[12:13], v[4:5], v[6:7]
	global_load_dwordx4 v[6:9], v[0:1], off offset:1360
	ds_read_b128 v[2:5], v197 offset:1360
	ds_write_b128 v197, v[10:13] offset:1088
	s_waitcnt vmcnt(0) lgkmcnt(1)
	v_mul_f64 v[10:11], v[4:5], v[8:9]
	v_mul_f64 v[12:13], v[2:3], v[8:9]
	v_fma_f64 v[10:11], v[2:3], v[6:7], -v[10:11]
	v_fmac_f64_e32 v[12:13], v[4:5], v[6:7]
	global_load_dwordx4 v[6:9], v[0:1], off offset:1632
	ds_read_b128 v[2:5], v197 offset:1632
	ds_write_b128 v197, v[10:13] offset:1360
	s_waitcnt vmcnt(0) lgkmcnt(1)
	v_mul_f64 v[10:11], v[4:5], v[8:9]
	v_mul_f64 v[12:13], v[2:3], v[8:9]
	v_fma_f64 v[10:11], v[2:3], v[6:7], -v[10:11]
	v_fmac_f64_e32 v[12:13], v[4:5], v[6:7]
	global_load_dwordx4 v[6:9], v[0:1], off offset:1904
	ds_read_b128 v[2:5], v197 offset:1904
	ds_write_b128 v197, v[10:13] offset:1632
	s_waitcnt vmcnt(0) lgkmcnt(1)
	v_mul_f64 v[10:11], v[4:5], v[8:9]
	v_mul_f64 v[12:13], v[2:3], v[8:9]
	v_fma_f64 v[10:11], v[2:3], v[6:7], -v[10:11]
	v_fmac_f64_e32 v[12:13], v[4:5], v[6:7]
	global_load_dwordx4 v[6:9], v[0:1], off offset:2176
	ds_read_b128 v[2:5], v197 offset:2176
	ds_write_b128 v197, v[10:13] offset:1904
	s_waitcnt vmcnt(0) lgkmcnt(1)
	v_mul_f64 v[10:11], v[4:5], v[8:9]
	v_mul_f64 v[12:13], v[2:3], v[8:9]
	v_fma_f64 v[10:11], v[2:3], v[6:7], -v[10:11]
	v_fmac_f64_e32 v[12:13], v[4:5], v[6:7]
	global_load_dwordx4 v[6:9], v[0:1], off offset:2448
	ds_read_b128 v[2:5], v197 offset:2448
	ds_write_b128 v197, v[10:13] offset:2176
	s_waitcnt vmcnt(0) lgkmcnt(1)
	v_mul_f64 v[10:11], v[4:5], v[8:9]
	v_mul_f64 v[12:13], v[2:3], v[8:9]
	v_fma_f64 v[10:11], v[2:3], v[6:7], -v[10:11]
	v_fmac_f64_e32 v[12:13], v[4:5], v[6:7]
	global_load_dwordx4 v[6:9], v[0:1], off offset:2720
	ds_read_b128 v[2:5], v197 offset:2720
	ds_write_b128 v197, v[10:13] offset:2448
	s_waitcnt vmcnt(0) lgkmcnt(1)
	v_mul_f64 v[10:11], v[4:5], v[8:9]
	v_mul_f64 v[12:13], v[2:3], v[8:9]
	v_fma_f64 v[10:11], v[2:3], v[6:7], -v[10:11]
	v_fmac_f64_e32 v[12:13], v[4:5], v[6:7]
	global_load_dwordx4 v[6:9], v[0:1], off offset:2992
	ds_read_b128 v[2:5], v197 offset:2992
	ds_write_b128 v197, v[10:13] offset:2720
	s_waitcnt vmcnt(0) lgkmcnt(1)
	v_mul_f64 v[10:11], v[4:5], v[8:9]
	v_mul_f64 v[12:13], v[2:3], v[8:9]
	v_fma_f64 v[10:11], v[2:3], v[6:7], -v[10:11]
	v_fmac_f64_e32 v[12:13], v[4:5], v[6:7]
	global_load_dwordx4 v[6:9], v[0:1], off offset:3264
	ds_read_b128 v[2:5], v197 offset:3264
	ds_write_b128 v197, v[10:13] offset:2992
	s_waitcnt vmcnt(0) lgkmcnt(1)
	v_mul_f64 v[10:11], v[4:5], v[8:9]
	v_mul_f64 v[12:13], v[2:3], v[8:9]
	v_fma_f64 v[10:11], v[2:3], v[6:7], -v[10:11]
	v_fmac_f64_e32 v[12:13], v[4:5], v[6:7]
	global_load_dwordx4 v[6:9], v[0:1], off offset:3536
	ds_read_b128 v[2:5], v197 offset:3536
	ds_write_b128 v197, v[10:13] offset:3264
	s_waitcnt vmcnt(0) lgkmcnt(1)
	v_mul_f64 v[10:11], v[4:5], v[8:9]
	v_mul_f64 v[12:13], v[2:3], v[8:9]
	v_fma_f64 v[10:11], v[2:3], v[6:7], -v[10:11]
	v_fmac_f64_e32 v[12:13], v[4:5], v[6:7]
	global_load_dwordx4 v[6:9], v[0:1], off offset:3808
	ds_read_b128 v[2:5], v197 offset:3808
	ds_write_b128 v197, v[10:13] offset:3536
	v_mul_f64 v[0:1], v[134:135], v[138:139]
	v_fma_f64 v[0:1], v[132:133], v[136:137], -v[0:1]
	s_waitcnt vmcnt(0) lgkmcnt(1)
	v_mul_f64 v[10:11], v[4:5], v[8:9]
	v_fma_f64 v[10:11], v[2:3], v[6:7], -v[10:11]
	v_mul_f64 v[12:13], v[2:3], v[8:9]
	v_mul_f64 v[2:3], v[132:133], v[138:139]
	v_fmac_f64_e32 v[12:13], v[4:5], v[6:7]
	v_fmac_f64_e32 v[2:3], v[134:135], v[136:137]
	ds_write_b128 v197, v[10:13] offset:3808
	ds_write_b128 v197, v[0:3] offset:4080
	s_waitcnt lgkmcnt(0)
	s_barrier
	ds_read_b128 v[0:3], v197
	ds_read_b128 v[4:7], v197 offset:272
	ds_read_b128 v[8:11], v197 offset:544
	ds_read_b128 v[12:15], v197 offset:816
	ds_read_b128 v[16:19], v197 offset:1088
	ds_read_b128 v[20:23], v197 offset:1360
	ds_read_b128 v[24:27], v197 offset:1632
	ds_read_b128 v[28:31], v197 offset:1904
	ds_read_b128 v[32:35], v197 offset:2176
	ds_read_b128 v[40:43], v197 offset:2448
	ds_read_b128 v[44:47], v197 offset:2720
	ds_read_b128 v[132:135], v197 offset:2992
	ds_read_b128 v[136:139], v197 offset:3264
	ds_read_b128 v[140:143], v197 offset:3536
	ds_read_b128 v[144:147], v197 offset:3808
	ds_read_b128 v[148:151], v197 offset:4080
	s_waitcnt lgkmcnt(7)
	v_add_f64 v[32:33], v[0:1], -v[32:33]
	v_add_f64 v[34:35], v[2:3], -v[34:35]
	s_waitcnt lgkmcnt(3)
	v_add_f64 v[36:37], v[16:17], -v[136:137]
	v_add_f64 v[48:49], v[18:19], -v[138:139]
	;; [unrolled: 1-line block ×4, first 2 shown]
	s_waitcnt lgkmcnt(1)
	v_add_f64 v[50:51], v[24:25], -v[144:145]
	v_add_f64 v[52:53], v[26:27], -v[146:147]
	v_fma_f64 v[16:17], v[16:17], 2.0, -v[36:37]
	v_fma_f64 v[18:19], v[18:19], 2.0, -v[48:49]
	;; [unrolled: 1-line block ×4, first 2 shown]
	v_add_f64 v[48:49], v[32:33], v[48:49]
	v_add_f64 v[36:37], v[34:35], -v[36:37]
	v_add_f64 v[52:53], v[44:45], v[52:53]
	v_add_f64 v[50:51], v[46:47], -v[50:51]
	v_fma_f64 v[0:1], v[0:1], 2.0, -v[32:33]
	v_fma_f64 v[2:3], v[2:3], 2.0, -v[34:35]
	;; [unrolled: 1-line block ×4, first 2 shown]
	v_add_f64 v[40:41], v[4:5], -v[40:41]
	v_add_f64 v[42:43], v[6:7], -v[42:43]
	v_add_f64 v[54:55], v[20:21], -v[140:141]
	v_add_f64 v[56:57], v[22:23], -v[142:143]
	v_add_f64 v[58:59], v[12:13], -v[132:133]
	v_add_f64 v[60:61], v[14:15], -v[134:135]
	s_waitcnt lgkmcnt(0)
	v_add_f64 v[62:63], v[28:29], -v[148:149]
	v_add_f64 v[132:133], v[30:31], -v[150:151]
	v_fma_f64 v[32:33], v[32:33], 2.0, -v[48:49]
	v_fma_f64 v[34:35], v[34:35], 2.0, -v[36:37]
	;; [unrolled: 1-line block ×8, first 2 shown]
	v_add_f64 v[56:57], v[40:41], v[56:57]
	v_add_f64 v[54:55], v[42:43], -v[54:55]
	v_add_f64 v[132:133], v[58:59], v[132:133]
	v_add_f64 v[62:63], v[60:61], -v[62:63]
	v_fma_f64 v[152:153], s[0:1], v[44:45], v[32:33]
	v_fma_f64 v[154:155], s[0:1], v[46:47], v[34:35]
	v_fma_f64 v[4:5], v[4:5], 2.0, -v[40:41]
	v_fma_f64 v[6:7], v[6:7], 2.0, -v[42:43]
	;; [unrolled: 1-line block ×8, first 2 shown]
	v_fmac_f64_e32 v[152:153], s[2:3], v[46:47]
	v_fmac_f64_e32 v[154:155], s[0:1], v[44:45]
	v_fma_f64 v[44:45], s[2:3], v[52:53], v[48:49]
	v_fma_f64 v[46:47], s[2:3], v[50:51], v[36:37]
	v_fmac_f64_e32 v[44:45], s[2:3], v[50:51]
	v_fmac_f64_e32 v[46:47], s[0:1], v[52:53]
	v_fma_f64 v[50:51], s[0:1], v[58:59], v[40:41]
	v_fma_f64 v[52:53], s[0:1], v[60:61], v[42:43]
	v_add_f64 v[16:17], v[0:1], -v[16:17]
	v_add_f64 v[18:19], v[2:3], -v[18:19]
	;; [unrolled: 1-line block ×8, first 2 shown]
	v_fmac_f64_e32 v[50:51], s[2:3], v[60:61]
	v_fmac_f64_e32 v[52:53], s[0:1], v[58:59]
	v_fma_f64 v[58:59], s[2:3], v[132:133], v[56:57]
	v_fma_f64 v[60:61], s[2:3], v[62:63], v[54:55]
	v_fma_f64 v[0:1], v[0:1], 2.0, -v[16:17]
	v_fma_f64 v[2:3], v[2:3], 2.0, -v[18:19]
	;; [unrolled: 1-line block ×8, first 2 shown]
	v_add_f64 v[26:27], v[16:17], v[26:27]
	v_add_f64 v[24:25], v[18:19], -v[24:25]
	v_add_f64 v[30:31], v[20:21], v[30:31]
	v_add_f64 v[28:29], v[22:23], -v[28:29]
	v_fmac_f64_e32 v[58:59], s[2:3], v[62:63]
	v_fmac_f64_e32 v[60:61], s[0:1], v[132:133]
	v_add_f64 v[8:9], v[0:1], -v[8:9]
	v_add_f64 v[10:11], v[2:3], -v[10:11]
	v_fma_f64 v[32:33], v[32:33], 2.0, -v[152:153]
	v_fma_f64 v[34:35], v[34:35], 2.0, -v[154:155]
	v_fma_f64 v[16:17], v[16:17], 2.0, -v[26:27]
	v_fma_f64 v[18:19], v[18:19], 2.0, -v[24:25]
	v_fma_f64 v[48:49], v[48:49], 2.0, -v[44:45]
	v_fma_f64 v[36:37], v[36:37], 2.0, -v[46:47]
	v_add_f64 v[12:13], v[4:5], -v[12:13]
	v_add_f64 v[14:15], v[6:7], -v[14:15]
	v_fma_f64 v[40:41], v[40:41], 2.0, -v[50:51]
	v_fma_f64 v[42:43], v[42:43], 2.0, -v[52:53]
	;; [unrolled: 1-line block ×10, first 2 shown]
	v_fma_f64 v[160:161], s[10:11], v[40:41], v[32:33]
	v_fma_f64 v[162:163], s[10:11], v[42:43], v[34:35]
	;; [unrolled: 1-line block ×12, first 2 shown]
	v_add_f64 v[156:157], v[0:1], -v[4:5]
	v_add_f64 v[158:159], v[2:3], -v[6:7]
	v_fmac_f64_e32 v[160:161], s[8:9], v[42:43]
	v_fmac_f64_e32 v[162:163], s[14:15], v[40:41]
	v_fmac_f64_e32 v[164:165], s[2:3], v[22:23]
	v_fmac_f64_e32 v[166:167], s[0:1], v[20:21]
	v_fmac_f64_e32 v[168:169], s[16:17], v[54:55]
	v_fmac_f64_e32 v[170:171], s[10:11], v[56:57]
	v_add_f64 v[180:181], v[8:9], v[14:15]
	v_add_f64 v[182:183], v[10:11], -v[12:13]
	v_fmac_f64_e32 v[176:177], s[16:17], v[52:53]
	v_fmac_f64_e32 v[178:179], s[10:11], v[50:51]
	;; [unrolled: 1-line block ×6, first 2 shown]
	v_fma_f64 v[132:133], v[0:1], 2.0, -v[156:157]
	v_fma_f64 v[134:135], v[2:3], 2.0, -v[158:159]
	;; [unrolled: 1-line block ×16, first 2 shown]
	s_barrier
	ds_write_b128 v38, v[132:135]
	ds_write_b128 v38, v[136:139] offset:16
	ds_write_b128 v38, v[140:143] offset:32
	;; [unrolled: 1-line block ×15, first 2 shown]
	s_waitcnt lgkmcnt(0)
	s_barrier
	s_and_saveexec_b64 s[0:1], vcc
	s_cbranch_execz .LBB0_7
; %bb.6:
	ds_read_b128 v[132:135], v197
	ds_read_b128 v[136:139], v197 offset:256
	ds_read_b128 v[140:143], v197 offset:512
	;; [unrolled: 1-line block ×16, first 2 shown]
.LBB0_7:
	s_or_b64 exec, exec, s[0:1]
	s_and_saveexec_b64 s[0:1], vcc
	s_cbranch_execz .LBB0_9
; %bb.8:
	s_waitcnt lgkmcnt(8)
	v_mul_f64 v[198:199], v[110:111], v[158:159]
	v_mul_f64 v[0:1], v[110:111], v[156:157]
	v_fmac_f64_e32 v[198:199], v[108:109], v[156:157]
	v_fma_f64 v[156:157], v[108:109], v[158:159], -v[0:1]
	s_waitcnt lgkmcnt(7)
	v_mul_f64 v[0:1], v[126:127], v[160:161]
	v_fma_f64 v[158:159], v[124:125], v[162:163], -v[0:1]
	v_mul_f64 v[0:1], v[98:99], v[192:193]
	v_mul_f64 v[200:201], v[126:127], v[162:163]
	v_fma_f64 v[162:163], v[96:97], v[194:195], -v[0:1]
	s_waitcnt lgkmcnt(6)
	v_mul_f64 v[0:1], v[122:123], v[164:165]
	v_fmac_f64_e32 v[200:201], v[124:125], v[160:161]
	v_mul_f64 v[126:127], v[122:123], v[166:167]
	v_fma_f64 v[160:161], v[120:121], v[166:167], -v[0:1]
	v_mul_f64 v[122:123], v[90:91], v[174:175]
	v_mul_f64 v[0:1], v[90:91], v[172:173]
	v_fmac_f64_e32 v[126:127], v[120:121], v[164:165]
	v_fmac_f64_e32 v[122:123], v[88:89], v[172:173]
	s_waitcnt lgkmcnt(5)
	v_mul_f64 v[120:121], v[114:115], v[170:171]
	v_fma_f64 v[172:173], v[88:89], v[174:175], -v[0:1]
	v_mul_f64 v[0:1], v[114:115], v[168:169]
	v_fmac_f64_e32 v[120:121], v[112:113], v[168:169]
	v_fma_f64 v[168:169], v[112:113], v[170:171], -v[0:1]
	v_mul_f64 v[0:1], v[82:83], v[152:153]
	v_fma_f64 v[174:175], v[80:81], v[154:155], -v[0:1]
	s_waitcnt lgkmcnt(4)
	v_mul_f64 v[0:1], v[102:103], v[180:181]
	v_fma_f64 v[170:171], v[100:101], v[182:183], -v[0:1]
	v_mul_f64 v[0:1], v[78:79], v[148:149]
	v_mul_f64 v[166:167], v[82:83], v[154:155]
	;; [unrolled: 1-line block ×3, first 2 shown]
	v_fma_f64 v[150:151], v[76:77], v[150:151], -v[0:1]
	s_waitcnt lgkmcnt(3)
	v_mul_f64 v[0:1], v[118:119], v[176:177]
	v_fmac_f64_e32 v[166:167], v[80:81], v[152:153]
	v_mul_f64 v[152:153], v[118:119], v[178:179]
	v_fma_f64 v[118:119], v[116:117], v[178:179], -v[0:1]
	v_mul_f64 v[0:1], v[74:75], v[144:145]
	v_fma_f64 v[178:179], v[72:73], v[146:147], -v[0:1]
	s_waitcnt lgkmcnt(2)
	v_mul_f64 v[0:1], v[106:107], v[184:185]
	v_fmac_f64_e32 v[154:155], v[76:77], v[148:149]
	v_mul_f64 v[148:149], v[74:75], v[146:147]
	v_fma_f64 v[146:147], v[104:105], v[186:187], -v[0:1]
	v_mul_f64 v[0:1], v[70:71], v[140:141]
	v_fmac_f64_e32 v[152:153], v[116:117], v[176:177]
	v_mul_f64 v[176:177], v[70:71], v[142:143]
	v_fma_f64 v[4:5], v[68:69], v[142:143], -v[0:1]
	s_waitcnt lgkmcnt(1)
	v_mul_f64 v[0:1], v[94:95], v[188:189]
	v_fmac_f64_e32 v[176:177], v[68:69], v[140:141]
	v_fma_f64 v[142:143], v[92:93], v[190:191], -v[0:1]
	v_mul_f64 v[0:1], v[66:67], v[138:139]
	s_waitcnt lgkmcnt(0)
	v_mul_f64 v[140:141], v[86:87], v[130:131]
	v_fmac_f64_e32 v[148:149], v[72:73], v[144:145]
	v_mul_f64 v[144:145], v[94:95], v[190:191]
	v_fmac_f64_e32 v[0:1], v[64:65], v[136:137]
	v_fmac_f64_e32 v[140:141], v[84:85], v[128:129]
	s_mov_b32 s34, 0xacd6c6b4
	v_mul_f64 v[10:11], v[66:67], v[136:137]
	v_mul_f64 v[18:19], v[86:87], v[128:129]
	;; [unrolled: 1-line block ×3, first 2 shown]
	v_fmac_f64_e32 v[144:145], v[92:93], v[188:189]
	s_mov_b32 s36, 0x5d8e7cdc
	v_add_f64 v[32:33], v[0:1], -v[140:141]
	s_mov_b32 s35, 0xbfc7851a
	v_fma_f64 v[10:11], v[64:65], v[138:139], -v[10:11]
	v_fma_f64 v[128:129], v[84:85], v[130:131], -v[18:19]
	s_mov_b32 s28, 0x7faef3
	v_fmac_f64_e32 v[116:117], v[104:105], v[184:185]
	s_mov_b32 s26, 0x4363dd80
	v_add_f64 v[28:29], v[176:177], -v[144:145]
	s_mov_b32 s37, 0x3fd71e95
	s_mov_b32 s24, 0x370991
	v_mul_f64 v[54:55], v[32:33], s[34:35]
	v_add_f64 v[18:19], v[128:129], v[10:11]
	s_mov_b32 s29, 0xbfef7484
	v_mul_f64 v[164:165], v[102:103], v[182:183]
	s_mov_b32 s40, 0x2a9d6da3
	v_add_f64 v[16:17], v[148:149], -v[116:117]
	s_mov_b32 s27, 0xbfe0d888
	s_mov_b32 s22, 0x910ea3b9
	v_mul_f64 v[52:53], v[28:29], s[36:37]
	v_add_f64 v[14:15], v[142:143], v[4:5]
	s_mov_b32 s25, 0x3fedd6d0
	v_fma_f64 v[38:39], s[28:29], v[18:19], v[54:55]
	v_fmac_f64_e32 v[164:165], v[100:101], v[180:181]
	s_mov_b32 s20, 0x6c9a05f6
	v_add_f64 v[12:13], v[154:155], -v[152:153]
	s_mov_b32 s41, 0x3fe58eea
	s_mov_b32 s18, 0x75d4884
	v_mul_f64 v[50:51], v[16:17], s[26:27]
	v_add_f64 v[8:9], v[146:147], v[178:179]
	s_mov_b32 s23, 0xbfeb34fa
	v_fma_f64 v[36:37], s[24:25], v[14:15], v[52:53]
	v_add_f64 v[38:39], v[134:135], v[38:39]
	v_add_f64 v[190:191], v[10:11], -v[128:129]
	v_fma_f64 v[54:55], v[18:19], s[28:29], -v[54:55]
	v_mul_f64 v[124:125], v[98:99], v[194:195]
	s_mov_b32 s30, 0x7c9e640b
	v_add_f64 v[6:7], v[166:167], -v[164:165]
	s_mov_b32 s21, 0xbfe9895b
	s_mov_b32 s16, 0x6ed5f1bb
	v_mul_f64 v[48:49], v[12:13], s[40:41]
	v_add_f64 v[2:3], v[118:119], v[150:151]
	s_mov_b32 s19, 0x3fe7a5f6
	v_fma_f64 v[34:35], s[22:23], v[8:9], v[50:51]
	v_add_f64 v[36:37], v[36:37], v[38:39]
	v_add_f64 v[38:39], v[4:5], -v[142:143]
	v_add_f64 v[138:139], v[140:141], v[0:1]
	v_mul_f64 v[86:87], v[190:191], s[34:35]
	v_fma_f64 v[52:53], v[14:15], s[24:25], -v[52:53]
	v_add_f64 v[54:55], v[134:135], v[54:55]
	v_fmac_f64_e32 v[124:125], v[96:97], v[192:193]
	s_mov_b32 s14, 0x923c349f
	v_add_f64 v[208:209], v[122:123], -v[120:121]
	s_mov_b32 s31, 0x3feca52d
	s_mov_b32 s10, 0x2b2883cd
	v_mul_f64 v[46:47], v[6:7], s[20:21]
	v_add_f64 v[180:181], v[170:171], v[174:175]
	s_mov_b32 s17, 0xbfe348c8
	v_fma_f64 v[30:31], s[18:19], v[2:3], v[48:49]
	v_add_f64 v[34:35], v[34:35], v[36:37]
	v_add_f64 v[36:37], v[178:179], -v[146:147]
	v_add_f64 v[136:137], v[144:145], v[176:177]
	v_mul_f64 v[82:83], v[38:39], s[36:37]
	v_fma_f64 v[88:89], v[138:139], s[28:29], -v[86:87]
	v_fma_f64 v[50:51], v[8:9], s[22:23], -v[50:51]
	v_add_f64 v[52:53], v[52:53], v[54:55]
	v_add_f64 v[206:207], v[124:125], -v[126:127]
	s_mov_b32 s15, 0xbfeec746
	s_mov_b32 s8, 0xc61f0d01
	v_mul_f64 v[44:45], v[208:209], s[30:31]
	v_add_f64 v[194:195], v[172:173], v[168:169]
	s_mov_b32 s11, 0x3fdc86fa
	v_fma_f64 v[26:27], s[16:17], v[180:181], v[46:47]
	v_add_f64 v[30:31], v[30:31], v[34:35]
	v_add_f64 v[188:189], v[150:151], -v[118:119]
	v_add_f64 v[130:131], v[116:117], v[148:149]
	v_mul_f64 v[78:79], v[36:37], s[26:27]
	v_fma_f64 v[84:85], v[136:137], s[24:25], -v[82:83]
	v_add_f64 v[88:89], v[132:133], v[88:89]
	v_fma_f64 v[48:49], v[2:3], s[18:19], -v[48:49]
	v_add_f64 v[50:51], v[50:51], v[52:53]
	s_mov_b32 s46, 0xeb564b22
	v_mul_f64 v[42:43], v[206:207], s[14:15]
	v_add_f64 v[192:193], v[160:161], v[162:163]
	s_mov_b32 s9, 0xbfd183b1
	v_fma_f64 v[24:25], s[10:11], v[194:195], v[44:45]
	v_add_f64 v[26:27], v[26:27], v[30:31]
	v_add_f64 v[186:187], v[174:175], -v[170:171]
	v_add_f64 v[30:31], v[152:153], v[154:155]
	v_mul_f64 v[74:75], v[188:189], s[40:41]
	v_fma_f64 v[80:81], v[130:131], s[22:23], -v[78:79]
	v_add_f64 v[84:85], v[84:85], v[88:89]
	v_fma_f64 v[46:47], v[180:181], s[16:17], -v[46:47]
	v_add_f64 v[48:49], v[48:49], v[50:51]
	v_add_f64 v[204:205], v[198:199], -v[200:201]
	s_mov_b32 s47, 0x3fefdd0d
	s_mov_b32 s2, 0x3259b75e
	v_fma_f64 v[22:23], s[8:9], v[192:193], v[42:43]
	v_add_f64 v[24:25], v[24:25], v[26:27]
	v_add_f64 v[184:185], v[172:173], -v[168:169]
	v_add_f64 v[26:27], v[164:165], v[166:167]
	v_mul_f64 v[72:73], v[186:187], s[20:21]
	v_fma_f64 v[76:77], v[30:31], s[18:19], -v[74:75]
	v_add_f64 v[80:81], v[80:81], v[84:85]
	v_fma_f64 v[44:45], v[194:195], s[10:11], -v[44:45]
	v_add_f64 v[46:47], v[46:47], v[48:49]
	v_mul_f64 v[40:41], v[204:205], s[46:47]
	v_add_f64 v[202:203], v[158:159], v[156:157]
	s_mov_b32 s3, 0x3fb79ee6
	v_add_f64 v[22:23], v[22:23], v[24:25]
	v_add_f64 v[24:25], v[122:123], v[120:121]
	v_mul_f64 v[68:69], v[184:185], s[30:31]
	v_fma_f64 v[70:71], v[26:27], s[16:17], -v[72:73]
	v_add_f64 v[76:77], v[76:77], v[80:81]
	v_fma_f64 v[42:43], v[192:193], s[8:9], -v[42:43]
	v_add_f64 v[44:45], v[44:45], v[46:47]
	v_fma_f64 v[20:21], s[2:3], v[202:203], v[40:41]
	v_fma_f64 v[64:65], v[24:25], s[10:11], -v[68:69]
	v_add_f64 v[70:71], v[70:71], v[76:77]
	v_fma_f64 v[40:41], v[202:203], s[2:3], -v[40:41]
	v_add_f64 v[42:43], v[42:43], v[44:45]
	v_fmac_f64_e32 v[86:87], s[28:29], v[138:139]
	v_add_f64 v[64:65], v[64:65], v[70:71]
	v_add_f64 v[70:71], v[40:41], v[42:43]
	v_fmac_f64_e32 v[82:83], s[24:25], v[136:137]
	v_add_f64 v[40:41], v[132:133], v[86:87]
	v_fmac_f64_e32 v[78:79], s[22:23], v[130:131]
	;; [unrolled: 2-line block ×3, first 2 shown]
	v_add_f64 v[40:41], v[78:79], v[40:41]
	v_add_f64 v[182:183], v[162:163], -v[160:161]
	v_fmac_f64_e32 v[72:73], s[16:17], v[26:27]
	v_add_f64 v[40:41], v[74:75], v[40:41]
	v_add_f64 v[66:67], v[20:21], v[22:23]
	v_add_f64 v[34:35], v[156:157], -v[158:159]
	v_add_f64 v[22:23], v[126:127], v[124:125]
	v_mul_f64 v[60:61], v[182:183], s[14:15]
	v_fmac_f64_e32 v[68:69], s[10:11], v[24:25]
	v_add_f64 v[40:41], v[72:73], v[40:41]
	v_mul_f64 v[78:79], v[32:33], s[26:27]
	v_add_f64 v[20:21], v[200:201], v[198:199]
	v_mul_f64 v[56:57], v[34:35], s[46:47]
	v_fma_f64 v[62:63], v[22:23], s[8:9], -v[60:61]
	v_fmac_f64_e32 v[60:61], s[8:9], v[22:23]
	v_add_f64 v[40:41], v[68:69], v[40:41]
	s_mov_b32 s43, 0xbfefdd0d
	s_mov_b32 s42, s46
	v_mul_f64 v[76:77], v[28:29], s[30:31]
	v_fma_f64 v[74:75], s[22:23], v[18:19], v[78:79]
	v_fma_f64 v[58:59], v[20:21], s[2:3], -v[56:57]
	v_add_f64 v[62:63], v[62:63], v[64:65]
	v_fmac_f64_e32 v[56:57], s[2:3], v[20:21]
	v_add_f64 v[40:41], v[60:61], v[40:41]
	s_mov_b32 s53, 0x3fe9895b
	s_mov_b32 s52, s20
	v_mul_f64 v[60:61], v[16:17], s[42:43]
	v_fma_f64 v[72:73], s[10:11], v[14:15], v[76:77]
	v_add_f64 v[74:75], v[134:135], v[74:75]
	v_mul_f64 v[94:95], v[190:191], s[26:27]
	v_add_f64 v[64:65], v[58:59], v[62:63]
	v_add_f64 v[68:69], v[56:57], v[40:41]
	s_mov_b32 s39, 0xbfd71e95
	s_mov_b32 s38, s36
	v_mul_f64 v[56:57], v[12:13], s[52:53]
	v_fma_f64 v[62:63], s[2:3], v[8:9], v[60:61]
	v_add_f64 v[72:73], v[72:73], v[74:75]
	v_mul_f64 v[90:91], v[38:39], s[30:31]
	v_fma_f64 v[96:97], v[138:139], s[22:23], -v[94:95]
	v_mul_f64 v[52:53], v[6:7], s[38:39]
	v_fma_f64 v[58:59], s[16:17], v[2:3], v[56:57]
	v_add_f64 v[62:63], v[62:63], v[72:73]
	v_mul_f64 v[86:87], v[36:37], s[42:43]
	v_fma_f64 v[92:93], v[136:137], s[10:11], -v[90:91]
	v_add_f64 v[96:97], v[132:133], v[96:97]
	v_mul_f64 v[48:49], v[208:209], s[34:35]
	v_fma_f64 v[54:55], s[24:25], v[180:181], v[52:53]
	v_add_f64 v[58:59], v[58:59], v[62:63]
	v_mul_f64 v[82:83], v[188:189], s[52:53]
	v_fma_f64 v[88:89], v[130:131], s[2:3], -v[86:87]
	v_add_f64 v[92:93], v[92:93], v[96:97]
	v_mul_f64 v[44:45], v[206:207], s[40:41]
	v_fma_f64 v[50:51], s[28:29], v[194:195], v[48:49]
	v_add_f64 v[54:55], v[54:55], v[58:59]
	v_mul_f64 v[80:81], v[186:187], s[38:39]
	v_fma_f64 v[84:85], v[30:31], s[16:17], -v[82:83]
	v_add_f64 v[88:89], v[88:89], v[92:93]
	v_mul_f64 v[40:41], v[204:205], s[14:15]
	v_fma_f64 v[46:47], s[18:19], v[192:193], v[44:45]
	v_add_f64 v[50:51], v[50:51], v[54:55]
	v_mul_f64 v[58:59], v[184:185], s[34:35]
	v_fma_f64 v[72:73], v[26:27], s[24:25], -v[80:81]
	v_add_f64 v[84:85], v[84:85], v[88:89]
	v_fma_f64 v[42:43], s[8:9], v[202:203], v[40:41]
	v_add_f64 v[46:47], v[46:47], v[50:51]
	v_mul_f64 v[50:51], v[182:183], s[40:41]
	v_fma_f64 v[62:63], v[24:25], s[28:29], -v[58:59]
	v_add_f64 v[72:73], v[72:73], v[84:85]
	v_add_f64 v[74:75], v[42:43], v[46:47]
	v_mul_f64 v[42:43], v[34:35], s[14:15]
	v_fma_f64 v[54:55], v[22:23], s[18:19], -v[50:51]
	v_add_f64 v[62:63], v[62:63], v[72:73]
	v_fma_f64 v[46:47], v[20:21], s[8:9], -v[42:43]
	v_add_f64 v[54:55], v[54:55], v[62:63]
	v_add_f64 v[72:73], v[46:47], v[54:55]
	v_fma_f64 v[54:55], v[8:9], s[2:3], -v[60:61]
	v_fma_f64 v[60:61], v[18:19], s[22:23], -v[78:79]
	;; [unrolled: 1-line block ×6, first 2 shown]
	v_add_f64 v[60:61], v[134:135], v[60:61]
	v_add_f64 v[56:57], v[56:57], v[60:61]
	;; [unrolled: 1-line block ×5, first 2 shown]
	v_fma_f64 v[44:45], v[192:193], s[18:19], -v[44:45]
	v_add_f64 v[46:47], v[46:47], v[48:49]
	v_fma_f64 v[40:41], v[202:203], s[8:9], -v[40:41]
	v_add_f64 v[44:45], v[44:45], v[46:47]
	v_fmac_f64_e32 v[94:95], s[22:23], v[138:139]
	v_add_f64 v[78:79], v[40:41], v[44:45]
	v_fmac_f64_e32 v[90:91], s[10:11], v[136:137]
	v_add_f64 v[40:41], v[132:133], v[94:95]
	v_fmac_f64_e32 v[86:87], s[2:3], v[130:131]
	v_add_f64 v[40:41], v[90:91], v[40:41]
	v_fmac_f64_e32 v[82:83], s[16:17], v[30:31]
	v_add_f64 v[40:41], v[86:87], v[40:41]
	s_mov_b32 s51, 0x3feec746
	s_mov_b32 s50, s14
	v_mul_f64 v[86:87], v[32:33], s[20:21]
	v_fmac_f64_e32 v[80:81], s[24:25], v[26:27]
	v_add_f64 v[40:41], v[82:83], v[40:41]
	v_mul_f64 v[84:85], v[28:29], s[50:51]
	v_fma_f64 v[82:83], s[16:17], v[18:19], v[86:87]
	v_add_f64 v[40:41], v[80:81], v[40:41]
	v_mul_f64 v[60:61], v[16:17], s[38:39]
	v_fma_f64 v[80:81], s[8:9], v[14:15], v[84:85]
	v_add_f64 v[82:83], v[134:135], v[82:83]
	v_mul_f64 v[102:103], v[190:191], s[20:21]
	v_fmac_f64_e32 v[58:59], s[28:29], v[24:25]
	v_mul_f64 v[56:57], v[12:13], s[26:27]
	v_fma_f64 v[62:63], s[24:25], v[8:9], v[60:61]
	v_add_f64 v[80:81], v[80:81], v[82:83]
	v_mul_f64 v[98:99], v[38:39], s[50:51]
	v_fma_f64 v[104:105], v[138:139], s[16:17], -v[102:103]
	v_add_f64 v[40:41], v[58:59], v[40:41]
	s_mov_b32 s45, 0xbfe58eea
	s_mov_b32 s44, s40
	v_mul_f64 v[52:53], v[6:7], s[46:47]
	v_fma_f64 v[58:59], s[22:23], v[2:3], v[56:57]
	v_add_f64 v[62:63], v[62:63], v[80:81]
	v_mul_f64 v[94:95], v[36:37], s[38:39]
	v_fma_f64 v[100:101], v[136:137], s[8:9], -v[98:99]
	v_add_f64 v[104:105], v[132:133], v[104:105]
	v_fmac_f64_e32 v[50:51], s[18:19], v[22:23]
	v_mul_f64 v[48:49], v[208:209], s[44:45]
	v_fma_f64 v[54:55], s[2:3], v[180:181], v[52:53]
	v_add_f64 v[58:59], v[58:59], v[62:63]
	v_mul_f64 v[90:91], v[188:189], s[26:27]
	v_fma_f64 v[96:97], v[130:131], s[24:25], -v[94:95]
	v_add_f64 v[100:101], v[100:101], v[104:105]
	v_fmac_f64_e32 v[42:43], s[8:9], v[20:21]
	v_add_f64 v[40:41], v[50:51], v[40:41]
	v_mul_f64 v[44:45], v[206:207], s[34:35]
	v_fma_f64 v[50:51], s[18:19], v[194:195], v[48:49]
	v_add_f64 v[54:55], v[54:55], v[58:59]
	v_mul_f64 v[88:89], v[186:187], s[46:47]
	v_fma_f64 v[92:93], v[30:31], s[22:23], -v[90:91]
	v_add_f64 v[96:97], v[96:97], v[100:101]
	v_add_f64 v[76:77], v[42:43], v[40:41]
	v_mul_f64 v[40:41], v[204:205], s[30:31]
	v_fma_f64 v[46:47], s[28:29], v[192:193], v[44:45]
	v_add_f64 v[50:51], v[50:51], v[54:55]
	v_mul_f64 v[58:59], v[184:185], s[44:45]
	v_fma_f64 v[80:81], v[26:27], s[2:3], -v[88:89]
	v_add_f64 v[92:93], v[92:93], v[96:97]
	v_fma_f64 v[42:43], s[10:11], v[202:203], v[40:41]
	v_add_f64 v[46:47], v[46:47], v[50:51]
	v_mul_f64 v[50:51], v[182:183], s[34:35]
	v_fma_f64 v[62:63], v[24:25], s[18:19], -v[58:59]
	v_add_f64 v[80:81], v[80:81], v[92:93]
	v_add_f64 v[82:83], v[42:43], v[46:47]
	v_mul_f64 v[42:43], v[34:35], s[30:31]
	v_fma_f64 v[54:55], v[22:23], s[28:29], -v[50:51]
	v_add_f64 v[62:63], v[62:63], v[80:81]
	v_fma_f64 v[46:47], v[20:21], s[10:11], -v[42:43]
	v_add_f64 v[54:55], v[54:55], v[62:63]
	v_add_f64 v[80:81], v[46:47], v[54:55]
	v_fma_f64 v[54:55], v[8:9], s[24:25], -v[60:61]
	v_fma_f64 v[60:61], v[18:19], s[16:17], -v[86:87]
	;; [unrolled: 1-line block ×6, first 2 shown]
	v_add_f64 v[60:61], v[134:135], v[60:61]
	v_add_f64 v[56:57], v[56:57], v[60:61]
	;; [unrolled: 1-line block ×5, first 2 shown]
	v_fma_f64 v[44:45], v[192:193], s[28:29], -v[44:45]
	v_add_f64 v[46:47], v[46:47], v[48:49]
	v_fma_f64 v[40:41], v[202:203], s[10:11], -v[40:41]
	v_add_f64 v[44:45], v[44:45], v[46:47]
	v_fmac_f64_e32 v[102:103], s[16:17], v[138:139]
	v_add_f64 v[86:87], v[40:41], v[44:45]
	v_fmac_f64_e32 v[98:99], s[8:9], v[136:137]
	;; [unrolled: 2-line block ×4, first 2 shown]
	v_add_f64 v[40:41], v[94:95], v[40:41]
	s_mov_b32 s55, 0x3fe0d888
	s_mov_b32 s54, s26
	v_mul_f64 v[94:95], v[32:33], s[14:15]
	v_fmac_f64_e32 v[88:89], s[2:3], v[26:27]
	v_add_f64 v[40:41], v[90:91], v[40:41]
	v_mul_f64 v[92:93], v[28:29], s[54:55]
	v_fma_f64 v[90:91], s[8:9], v[18:19], v[94:95]
	v_add_f64 v[40:41], v[88:89], v[40:41]
	s_mov_b32 s49, 0xbfeca52d
	s_mov_b32 s48, s30
	v_mul_f64 v[60:61], v[16:17], s[40:41]
	v_fma_f64 v[88:89], s[22:23], v[14:15], v[92:93]
	v_add_f64 v[90:91], v[134:135], v[90:91]
	v_mul_f64 v[110:111], v[190:191], s[14:15]
	v_fmac_f64_e32 v[58:59], s[18:19], v[24:25]
	v_mul_f64 v[56:57], v[12:13], s[48:49]
	v_fma_f64 v[62:63], s[18:19], v[8:9], v[60:61]
	v_add_f64 v[88:89], v[88:89], v[90:91]
	v_mul_f64 v[106:107], v[38:39], s[54:55]
	v_fma_f64 v[112:113], v[138:139], s[8:9], -v[110:111]
	v_add_f64 v[40:41], v[58:59], v[40:41]
	v_mul_f64 v[52:53], v[6:7], s[34:35]
	v_fma_f64 v[58:59], s[10:11], v[2:3], v[56:57]
	v_add_f64 v[62:63], v[62:63], v[88:89]
	v_mul_f64 v[102:103], v[36:37], s[40:41]
	v_fma_f64 v[108:109], v[136:137], s[22:23], -v[106:107]
	v_add_f64 v[112:113], v[132:133], v[112:113]
	v_fmac_f64_e32 v[50:51], s[28:29], v[22:23]
	v_mul_f64 v[48:49], v[208:209], s[46:47]
	v_fma_f64 v[54:55], s[28:29], v[180:181], v[52:53]
	v_add_f64 v[58:59], v[58:59], v[62:63]
	v_mul_f64 v[98:99], v[188:189], s[48:49]
	v_fma_f64 v[104:105], v[130:131], s[18:19], -v[102:103]
	v_add_f64 v[108:109], v[108:109], v[112:113]
	v_fmac_f64_e32 v[42:43], s[10:11], v[20:21]
	v_add_f64 v[40:41], v[50:51], v[40:41]
	v_mul_f64 v[44:45], v[206:207], s[38:39]
	v_fma_f64 v[50:51], s[2:3], v[194:195], v[48:49]
	v_add_f64 v[54:55], v[54:55], v[58:59]
	v_mul_f64 v[96:97], v[186:187], s[34:35]
	v_fma_f64 v[100:101], v[30:31], s[10:11], -v[98:99]
	v_add_f64 v[104:105], v[104:105], v[108:109]
	v_add_f64 v[84:85], v[42:43], v[40:41]
	v_mul_f64 v[40:41], v[204:205], s[20:21]
	v_fma_f64 v[46:47], s[24:25], v[192:193], v[44:45]
	v_add_f64 v[50:51], v[50:51], v[54:55]
	v_mul_f64 v[58:59], v[184:185], s[46:47]
	v_fma_f64 v[88:89], v[26:27], s[28:29], -v[96:97]
	v_add_f64 v[100:101], v[100:101], v[104:105]
	v_fma_f64 v[42:43], s[16:17], v[202:203], v[40:41]
	v_add_f64 v[46:47], v[46:47], v[50:51]
	v_mul_f64 v[50:51], v[182:183], s[38:39]
	v_fma_f64 v[62:63], v[24:25], s[2:3], -v[58:59]
	v_add_f64 v[88:89], v[88:89], v[100:101]
	v_add_f64 v[90:91], v[42:43], v[46:47]
	v_mul_f64 v[42:43], v[34:35], s[20:21]
	v_fma_f64 v[54:55], v[22:23], s[24:25], -v[50:51]
	v_add_f64 v[62:63], v[62:63], v[88:89]
	v_fma_f64 v[46:47], v[20:21], s[16:17], -v[42:43]
	v_add_f64 v[54:55], v[54:55], v[62:63]
	v_add_f64 v[88:89], v[46:47], v[54:55]
	v_fma_f64 v[54:55], v[8:9], s[18:19], -v[60:61]
	v_fma_f64 v[60:61], v[18:19], s[8:9], -v[94:95]
	;; [unrolled: 1-line block ×6, first 2 shown]
	v_add_f64 v[60:61], v[134:135], v[60:61]
	v_add_f64 v[56:57], v[56:57], v[60:61]
	v_add_f64 v[54:55], v[54:55], v[56:57]
	v_add_f64 v[52:53], v[52:53], v[54:55]
	v_add_f64 v[48:49], v[48:49], v[52:53]
	v_fma_f64 v[44:45], v[192:193], s[24:25], -v[44:45]
	v_add_f64 v[46:47], v[46:47], v[48:49]
	v_fma_f64 v[40:41], v[202:203], s[16:17], -v[40:41]
	v_add_f64 v[44:45], v[44:45], v[46:47]
	v_fmac_f64_e32 v[110:111], s[8:9], v[138:139]
	v_add_f64 v[94:95], v[40:41], v[44:45]
	v_fmac_f64_e32 v[106:107], s[22:23], v[136:137]
	;; [unrolled: 2-line block ×4, first 2 shown]
	v_add_f64 v[40:41], v[102:103], v[40:41]
	v_mul_f64 v[102:103], v[32:33], s[42:43]
	v_fmac_f64_e32 v[96:97], s[28:29], v[26:27]
	v_add_f64 v[40:41], v[98:99], v[40:41]
	v_mul_f64 v[100:101], v[28:29], s[34:35]
	v_fma_f64 v[98:99], s[2:3], v[18:19], v[102:103]
	v_add_f64 v[40:41], v[96:97], v[40:41]
	v_mul_f64 v[60:61], v[16:17], s[50:51]
	v_fma_f64 v[96:97], s[28:29], v[14:15], v[100:101]
	v_add_f64 v[98:99], v[134:135], v[98:99]
	v_mul_f64 v[212:213], v[190:191], s[42:43]
	v_fmac_f64_e32 v[58:59], s[2:3], v[24:25]
	v_mul_f64 v[56:57], v[12:13], s[36:37]
	v_fma_f64 v[62:63], s[8:9], v[8:9], v[60:61]
	v_add_f64 v[96:97], v[96:97], v[98:99]
	v_mul_f64 v[114:115], v[38:39], s[34:35]
	v_fma_f64 v[214:215], v[138:139], s[2:3], -v[212:213]
	v_add_f64 v[40:41], v[58:59], v[40:41]
	v_mul_f64 v[52:53], v[6:7], s[48:49]
	v_fma_f64 v[58:59], s[24:25], v[2:3], v[56:57]
	v_add_f64 v[62:63], v[62:63], v[96:97]
	v_mul_f64 v[110:111], v[36:37], s[50:51]
	v_fma_f64 v[210:211], v[136:137], s[28:29], -v[114:115]
	v_add_f64 v[214:215], v[132:133], v[214:215]
	v_fmac_f64_e32 v[50:51], s[24:25], v[22:23]
	v_mul_f64 v[48:49], v[208:209], s[26:27]
	v_fma_f64 v[54:55], s[10:11], v[180:181], v[52:53]
	v_add_f64 v[58:59], v[58:59], v[62:63]
	v_mul_f64 v[106:107], v[188:189], s[36:37]
	v_fma_f64 v[112:113], v[130:131], s[8:9], -v[110:111]
	v_add_f64 v[210:211], v[210:211], v[214:215]
	v_fmac_f64_e32 v[42:43], s[16:17], v[20:21]
	v_add_f64 v[40:41], v[50:51], v[40:41]
	v_mul_f64 v[44:45], v[206:207], s[52:53]
	v_fma_f64 v[50:51], s[22:23], v[194:195], v[48:49]
	v_add_f64 v[54:55], v[54:55], v[58:59]
	v_mul_f64 v[104:105], v[186:187], s[48:49]
	v_fma_f64 v[108:109], v[30:31], s[24:25], -v[106:107]
	v_add_f64 v[112:113], v[112:113], v[210:211]
	v_add_f64 v[92:93], v[42:43], v[40:41]
	v_mul_f64 v[40:41], v[204:205], s[40:41]
	v_fma_f64 v[46:47], s[16:17], v[192:193], v[44:45]
	v_add_f64 v[50:51], v[50:51], v[54:55]
	v_mul_f64 v[58:59], v[184:185], s[26:27]
	v_fma_f64 v[96:97], v[26:27], s[10:11], -v[104:105]
	v_add_f64 v[108:109], v[108:109], v[112:113]
	v_fma_f64 v[42:43], s[18:19], v[202:203], v[40:41]
	v_add_f64 v[46:47], v[46:47], v[50:51]
	v_mul_f64 v[50:51], v[182:183], s[52:53]
	v_fma_f64 v[62:63], v[24:25], s[22:23], -v[58:59]
	v_add_f64 v[96:97], v[96:97], v[108:109]
	v_add_f64 v[98:99], v[42:43], v[46:47]
	v_mul_f64 v[42:43], v[34:35], s[40:41]
	v_fma_f64 v[54:55], v[22:23], s[16:17], -v[50:51]
	v_add_f64 v[62:63], v[62:63], v[96:97]
	v_fma_f64 v[46:47], v[20:21], s[18:19], -v[42:43]
	v_add_f64 v[54:55], v[54:55], v[62:63]
	v_add_f64 v[96:97], v[46:47], v[54:55]
	v_fma_f64 v[54:55], v[8:9], s[8:9], -v[60:61]
	v_fma_f64 v[60:61], v[18:19], s[2:3], -v[102:103]
	;; [unrolled: 1-line block ×6, first 2 shown]
	v_add_f64 v[60:61], v[134:135], v[60:61]
	v_add_f64 v[56:57], v[56:57], v[60:61]
	;; [unrolled: 1-line block ×5, first 2 shown]
	v_fma_f64 v[44:45], v[192:193], s[16:17], -v[44:45]
	v_add_f64 v[46:47], v[46:47], v[48:49]
	v_fma_f64 v[40:41], v[202:203], s[18:19], -v[40:41]
	v_add_f64 v[44:45], v[44:45], v[46:47]
	v_fmac_f64_e32 v[212:213], s[2:3], v[138:139]
	v_add_f64 v[102:103], v[40:41], v[44:45]
	v_fmac_f64_e32 v[114:115], s[28:29], v[136:137]
	v_add_f64 v[40:41], v[132:133], v[212:213]
	v_fmac_f64_e32 v[110:111], s[8:9], v[130:131]
	v_add_f64 v[40:41], v[114:115], v[40:41]
	v_fmac_f64_e32 v[106:107], s[24:25], v[30:31]
	v_add_f64 v[40:41], v[110:111], v[40:41]
	v_mul_f64 v[110:111], v[32:33], s[48:49]
	v_fmac_f64_e32 v[104:105], s[10:11], v[26:27]
	v_add_f64 v[40:41], v[106:107], v[40:41]
	s_mov_b32 s47, 0x3fc7851a
	s_mov_b32 s46, s34
	v_mul_f64 v[108:109], v[28:29], s[20:21]
	v_fma_f64 v[106:107], s[10:11], v[18:19], v[110:111]
	v_add_f64 v[40:41], v[104:105], v[40:41]
	v_mul_f64 v[60:61], v[16:17], s[46:47]
	v_fma_f64 v[104:105], s[16:17], v[14:15], v[108:109]
	v_add_f64 v[106:107], v[134:135], v[106:107]
	v_mul_f64 v[220:221], v[190:191], s[48:49]
	v_fmac_f64_e32 v[58:59], s[22:23], v[24:25]
	v_mul_f64 v[56:57], v[12:13], s[50:51]
	v_fma_f64 v[62:63], s[28:29], v[8:9], v[60:61]
	v_add_f64 v[104:105], v[104:105], v[106:107]
	v_mul_f64 v[216:217], v[38:39], s[20:21]
	v_fma_f64 v[222:223], v[138:139], s[10:11], -v[220:221]
	v_add_f64 v[40:41], v[58:59], v[40:41]
	v_mul_f64 v[52:53], v[6:7], s[40:41]
	v_fma_f64 v[58:59], s[8:9], v[2:3], v[56:57]
	v_add_f64 v[62:63], v[62:63], v[104:105]
	v_mul_f64 v[212:213], v[36:37], s[46:47]
	v_fma_f64 v[218:219], v[136:137], s[16:17], -v[216:217]
	v_add_f64 v[222:223], v[132:133], v[222:223]
	v_fmac_f64_e32 v[50:51], s[16:17], v[22:23]
	v_mul_f64 v[48:49], v[208:209], s[38:39]
	v_fma_f64 v[54:55], s[18:19], v[180:181], v[52:53]
	v_add_f64 v[58:59], v[58:59], v[62:63]
	v_mul_f64 v[210:211], v[188:189], s[50:51]
	v_fma_f64 v[214:215], v[130:131], s[28:29], -v[212:213]
	v_add_f64 v[218:219], v[218:219], v[222:223]
	v_fmac_f64_e32 v[42:43], s[18:19], v[20:21]
	v_add_f64 v[40:41], v[50:51], v[40:41]
	v_mul_f64 v[44:45], v[206:207], s[42:43]
	v_fma_f64 v[50:51], s[24:25], v[194:195], v[48:49]
	v_add_f64 v[54:55], v[54:55], v[58:59]
	v_mul_f64 v[112:113], v[186:187], s[40:41]
	v_fma_f64 v[114:115], v[30:31], s[8:9], -v[210:211]
	v_add_f64 v[214:215], v[214:215], v[218:219]
	v_add_f64 v[100:101], v[42:43], v[40:41]
	v_mul_f64 v[40:41], v[204:205], s[26:27]
	v_fma_f64 v[46:47], s[2:3], v[192:193], v[44:45]
	v_add_f64 v[50:51], v[50:51], v[54:55]
	v_mul_f64 v[58:59], v[184:185], s[38:39]
	v_fma_f64 v[104:105], v[26:27], s[18:19], -v[112:113]
	v_add_f64 v[114:115], v[114:115], v[214:215]
	v_fma_f64 v[42:43], s[22:23], v[202:203], v[40:41]
	v_add_f64 v[46:47], v[46:47], v[50:51]
	v_mul_f64 v[50:51], v[182:183], s[42:43]
	v_fma_f64 v[62:63], v[24:25], s[24:25], -v[58:59]
	v_add_f64 v[104:105], v[104:105], v[114:115]
	v_add_f64 v[106:107], v[42:43], v[46:47]
	v_mul_f64 v[42:43], v[34:35], s[26:27]
	v_fma_f64 v[54:55], v[22:23], s[2:3], -v[50:51]
	v_add_f64 v[62:63], v[62:63], v[104:105]
	v_fma_f64 v[46:47], v[20:21], s[22:23], -v[42:43]
	v_add_f64 v[54:55], v[54:55], v[62:63]
	v_add_f64 v[104:105], v[46:47], v[54:55]
	v_fma_f64 v[54:55], v[8:9], s[28:29], -v[60:61]
	v_fma_f64 v[60:61], v[18:19], s[10:11], -v[110:111]
	;; [unrolled: 1-line block ×6, first 2 shown]
	v_add_f64 v[60:61], v[134:135], v[60:61]
	v_add_f64 v[56:57], v[56:57], v[60:61]
	;; [unrolled: 1-line block ×5, first 2 shown]
	v_fma_f64 v[44:45], v[192:193], s[2:3], -v[44:45]
	v_add_f64 v[46:47], v[46:47], v[48:49]
	v_fma_f64 v[40:41], v[202:203], s[22:23], -v[40:41]
	v_add_f64 v[44:45], v[44:45], v[46:47]
	v_fmac_f64_e32 v[220:221], s[10:11], v[138:139]
	v_add_f64 v[114:115], v[40:41], v[44:45]
	v_fmac_f64_e32 v[216:217], s[16:17], v[136:137]
	;; [unrolled: 2-line block ×4, first 2 shown]
	v_add_f64 v[40:41], v[212:213], v[40:41]
	v_mul_f64 v[212:213], v[32:33], s[44:45]
	v_add_f64 v[40:41], v[210:211], v[40:41]
	v_mul_f64 v[210:211], v[28:29], s[42:43]
	v_fma_f64 v[110:111], s[18:19], v[18:19], v[212:213]
	v_fmac_f64_e32 v[112:113], s[18:19], v[26:27]
	v_mul_f64 v[60:61], v[16:17], s[20:21]
	v_fma_f64 v[108:109], s[2:3], v[14:15], v[210:211]
	v_add_f64 v[110:111], v[134:135], v[110:111]
	v_mul_f64 v[228:229], v[190:191], s[44:45]
	v_fmac_f64_e32 v[58:59], s[24:25], v[24:25]
	v_add_f64 v[40:41], v[112:113], v[40:41]
	v_mul_f64 v[56:57], v[12:13], s[34:35]
	v_fma_f64 v[62:63], s[16:17], v[8:9], v[60:61]
	v_add_f64 v[108:109], v[108:109], v[110:111]
	v_mul_f64 v[224:225], v[38:39], s[42:43]
	v_fma_f64 v[230:231], v[138:139], s[18:19], -v[228:229]
	v_add_f64 v[40:41], v[58:59], v[40:41]
	v_mul_f64 v[52:53], v[6:7], s[54:55]
	v_fma_f64 v[58:59], s[28:29], v[2:3], v[56:57]
	v_add_f64 v[62:63], v[62:63], v[108:109]
	v_mul_f64 v[220:221], v[36:37], s[20:21]
	v_fma_f64 v[226:227], v[136:137], s[2:3], -v[224:225]
	v_add_f64 v[230:231], v[132:133], v[230:231]
	v_fmac_f64_e32 v[50:51], s[2:3], v[22:23]
	v_mul_f64 v[48:49], v[208:209], s[50:51]
	v_fma_f64 v[54:55], s[22:23], v[180:181], v[52:53]
	v_add_f64 v[58:59], v[58:59], v[62:63]
	v_mul_f64 v[216:217], v[188:189], s[34:35]
	v_fma_f64 v[222:223], v[130:131], s[16:17], -v[220:221]
	v_add_f64 v[226:227], v[226:227], v[230:231]
	v_fmac_f64_e32 v[42:43], s[22:23], v[20:21]
	v_add_f64 v[40:41], v[50:51], v[40:41]
	v_mul_f64 v[44:45], v[206:207], s[30:31]
	v_fma_f64 v[50:51], s[8:9], v[194:195], v[48:49]
	v_add_f64 v[54:55], v[54:55], v[58:59]
	v_mul_f64 v[214:215], v[186:187], s[54:55]
	v_fma_f64 v[218:219], v[30:31], s[28:29], -v[216:217]
	v_add_f64 v[222:223], v[222:223], v[226:227]
	v_add_f64 v[112:113], v[42:43], v[40:41]
	v_mul_f64 v[40:41], v[204:205], s[36:37]
	v_fma_f64 v[46:47], s[10:11], v[192:193], v[44:45]
	v_add_f64 v[50:51], v[50:51], v[54:55]
	v_mul_f64 v[58:59], v[184:185], s[50:51]
	v_fma_f64 v[108:109], v[26:27], s[22:23], -v[214:215]
	v_add_f64 v[218:219], v[218:219], v[222:223]
	v_fma_f64 v[42:43], s[24:25], v[202:203], v[40:41]
	v_add_f64 v[46:47], v[46:47], v[50:51]
	v_mul_f64 v[50:51], v[182:183], s[30:31]
	v_fma_f64 v[62:63], v[24:25], s[8:9], -v[58:59]
	v_add_f64 v[108:109], v[108:109], v[218:219]
	v_add_f64 v[110:111], v[42:43], v[46:47]
	v_mul_f64 v[46:47], v[34:35], s[36:37]
	v_fma_f64 v[54:55], v[22:23], s[10:11], -v[50:51]
	v_add_f64 v[62:63], v[62:63], v[108:109]
	v_fma_f64 v[42:43], v[20:21], s[24:25], -v[46:47]
	v_add_f64 v[54:55], v[54:55], v[62:63]
	v_add_f64 v[108:109], v[42:43], v[54:55]
	v_fma_f64 v[54:55], v[8:9], s[16:17], -v[60:61]
	v_fma_f64 v[60:61], v[18:19], s[18:19], -v[212:213]
	v_fma_f64 v[42:43], v[192:193], s[10:11], -v[44:45]
	v_fma_f64 v[44:45], v[194:195], s[8:9], -v[48:49]
	v_fma_f64 v[48:49], v[180:181], s[22:23], -v[52:53]
	v_fma_f64 v[52:53], v[2:3], s[28:29], -v[56:57]
	v_fma_f64 v[56:57], v[14:15], s[2:3], -v[210:211]
	v_add_f64 v[60:61], v[134:135], v[60:61]
	v_add_f64 v[56:57], v[56:57], v[60:61]
	;; [unrolled: 1-line block ×6, first 2 shown]
	v_fma_f64 v[40:41], v[202:203], s[24:25], -v[40:41]
	v_add_f64 v[42:43], v[42:43], v[44:45]
	v_fmac_f64_e32 v[228:229], s[18:19], v[138:139]
	v_add_f64 v[42:43], v[40:41], v[42:43]
	v_fmac_f64_e32 v[224:225], s[2:3], v[136:137]
	;; [unrolled: 2-line block ×6, first 2 shown]
	v_add_f64 v[40:41], v[214:215], v[40:41]
	v_mul_f64 v[12:13], v[12:13], s[42:43]
	v_mul_f64 v[28:29], v[28:29], s[44:45]
	;; [unrolled: 1-line block ×3, first 2 shown]
	v_add_f64 v[40:41], v[58:59], v[40:41]
	v_fma_f64 v[58:59], s[2:3], v[2:3], v[12:13]
	v_fma_f64 v[62:63], s[18:19], v[14:15], v[28:29]
	v_fma_f64 v[2:3], v[2:3], s[2:3], -v[12:13]
	v_fma_f64 v[12:13], v[14:15], s[18:19], -v[28:29]
	;; [unrolled: 1-line block ×3, first 2 shown]
	v_mul_f64 v[16:17], v[16:17], s[48:49]
	v_add_f64 v[14:15], v[134:135], v[14:15]
	v_fma_f64 v[60:61], s[10:11], v[8:9], v[16:17]
	v_fma_f64 v[8:9], v[8:9], s[10:11], -v[16:17]
	v_add_f64 v[12:13], v[12:13], v[14:15]
	v_mul_f64 v[6:7], v[6:7], s[14:15]
	v_add_f64 v[8:9], v[8:9], v[12:13]
	v_fmac_f64_e32 v[50:51], s[10:11], v[22:23]
	v_mul_f64 v[48:49], v[204:205], s[34:35]
	v_mul_f64 v[52:53], v[208:209], s[20:21]
	v_fma_f64 v[56:57], s[8:9], v[180:181], v[6:7]
	v_fma_f64 v[204:205], s[24:25], v[18:19], v[32:33]
	v_fma_f64 v[6:7], v[180:181], s[8:9], -v[6:7]
	v_add_f64 v[2:3], v[2:3], v[8:9]
	v_fmac_f64_e32 v[46:47], s[24:25], v[20:21]
	v_add_f64 v[40:41], v[50:51], v[40:41]
	v_mul_f64 v[50:51], v[206:207], s[26:27]
	v_fma_f64 v[54:55], s[16:17], v[194:195], v[52:53]
	v_add_f64 v[204:205], v[134:135], v[204:205]
	v_fma_f64 v[52:53], v[194:195], s[16:17], -v[52:53]
	v_add_f64 v[2:3], v[6:7], v[2:3]
	v_add_f64 v[40:41], v[46:47], v[40:41]
	v_fma_f64 v[46:47], s[22:23], v[192:193], v[50:51]
	v_add_f64 v[62:63], v[62:63], v[204:205]
	v_mul_f64 v[190:191], v[190:191], s[38:39]
	v_fma_f64 v[50:51], v[192:193], s[22:23], -v[50:51]
	v_add_f64 v[2:3], v[52:53], v[2:3]
	v_fma_f64 v[44:45], s[28:29], v[202:203], v[48:49]
	v_add_f64 v[60:61], v[60:61], v[62:63]
	v_mul_f64 v[38:39], v[38:39], s[44:45]
	v_fma_f64 v[206:207], v[138:139], s[24:25], -v[190:191]
	v_fma_f64 v[48:49], v[202:203], s[28:29], -v[48:49]
	v_add_f64 v[2:3], v[50:51], v[2:3]
	v_fmac_f64_e32 v[190:191], s[24:25], v[138:139]
	v_add_f64 v[58:59], v[58:59], v[60:61]
	v_mul_f64 v[36:37], v[36:37], s[48:49]
	v_fma_f64 v[204:205], v[136:137], s[18:19], -v[38:39]
	v_add_f64 v[8:9], v[48:49], v[2:3]
	v_fmac_f64_e32 v[38:39], s[18:19], v[136:137]
	v_add_f64 v[2:3], v[132:133], v[190:191]
	v_add_f64 v[56:57], v[56:57], v[58:59]
	v_mul_f64 v[58:59], v[184:185], s[20:21]
	v_mul_f64 v[184:185], v[188:189], s[42:43]
	v_fma_f64 v[188:189], v[130:131], s[10:11], -v[36:37]
	v_fmac_f64_e32 v[36:37], s[10:11], v[130:131]
	v_add_f64 v[2:3], v[38:39], v[2:3]
	v_add_f64 v[54:55], v[54:55], v[56:57]
	v_mul_f64 v[62:63], v[186:187], s[14:15]
	v_fma_f64 v[186:187], v[30:31], s[2:3], -v[184:185]
	v_fmac_f64_e32 v[184:185], s[2:3], v[30:31]
	v_add_f64 v[2:3], v[36:37], v[2:3]
	v_add_f64 v[46:47], v[46:47], v[54:55]
	v_mul_f64 v[54:55], v[182:183], s[26:27]
	v_fma_f64 v[182:183], v[26:27], s[8:9], -v[62:63]
	v_fmac_f64_e32 v[62:63], s[8:9], v[26:27]
	v_add_f64 v[2:3], v[184:185], v[2:3]
	v_fma_f64 v[60:61], v[24:25], s[16:17], -v[58:59]
	v_fmac_f64_e32 v[58:59], s[16:17], v[24:25]
	v_add_f64 v[2:3], v[62:63], v[2:3]
	v_mul_f64 v[34:35], v[34:35], s[34:35]
	v_fma_f64 v[56:57], v[22:23], s[22:23], -v[54:55]
	v_fmac_f64_e32 v[54:55], s[22:23], v[22:23]
	v_add_f64 v[2:3], v[58:59], v[2:3]
	v_add_f64 v[46:47], v[44:45], v[46:47]
	v_fma_f64 v[44:45], v[20:21], s[28:29], -v[34:35]
	v_fmac_f64_e32 v[34:35], s[28:29], v[20:21]
	v_add_f64 v[2:3], v[54:55], v[2:3]
	v_add_f64 v[6:7], v[34:35], v[2:3]
	;; [unrolled: 1-line block ×41, first 2 shown]
	ds_write_b128 v197, v[0:3]
	v_lshl_add_u32 v0, v232, 4, v233
	v_add_f64 v[44:45], v[44:45], v[56:57]
	ds_write_b128 v0, v[6:9] offset:256
	ds_write_b128 v0, v[40:43] offset:512
	ds_write_b128 v0, v[112:115] offset:768
	ds_write_b128 v0, v[100:103] offset:1024
	ds_write_b128 v0, v[92:95] offset:1280
	ds_write_b128 v0, v[84:87] offset:1536
	ds_write_b128 v0, v[76:79] offset:1792
	ds_write_b128 v0, v[68:71] offset:2048
	ds_write_b128 v0, v[64:67] offset:2304
	ds_write_b128 v0, v[72:75] offset:2560
	ds_write_b128 v0, v[80:83] offset:2816
	ds_write_b128 v0, v[88:91] offset:3072
	ds_write_b128 v0, v[96:99] offset:3328
	ds_write_b128 v0, v[104:107] offset:3584
	ds_write_b128 v0, v[108:111] offset:3840
	ds_write_b128 v0, v[44:47] offset:4096
.LBB0_9:
	s_or_b64 exec, exec, s[0:1]
	s_waitcnt lgkmcnt(0)
	s_barrier
	ds_read_b128 v[0:3], v197
	v_mad_u64_u32 v[14:15], s[0:1], s6, v196, 0
	v_mov_b32_e32 v4, v15
	v_accvgpr_read_b32 v16, a16
	v_mad_u64_u32 v[4:5], s[0:1], s7, v196, v[4:5]
	v_accvgpr_read_b32 v18, a18
	v_accvgpr_read_b32 v19, a19
	v_mov_b32_e32 v15, v4
	ds_read_b128 v[4:7], v197 offset:272
	v_accvgpr_read_b32 v17, a17
	s_waitcnt lgkmcnt(1)
	v_mul_f64 v[8:9], v[18:19], v[2:3]
	v_fmac_f64_e32 v[8:9], v[16:17], v[0:1]
	s_mov_b32 s0, 0x1e1e1e1e
	v_mul_f64 v[0:1], v[18:19], v[0:1]
	s_mov_b32 s1, 0x3f6e1e1e
	v_fma_f64 v[0:1], v[16:17], v[2:3], -v[0:1]
	v_mul_f64 v[10:11], v[0:1], s[0:1]
	v_mad_u64_u32 v[0:1], s[2:3], s4, v232, 0
	v_mov_b32_e32 v2, v1
	v_mov_b32_e32 v12, s12
	v_mov_b32_e32 v13, s13
	v_mad_u64_u32 v[2:3], s[2:3], s5, v232, v[2:3]
	v_mov_b32_e32 v1, v2
	v_lshl_add_u64 v[2:3], v[14:15], 4, v[12:13]
	v_mul_f64 v[8:9], v[8:9], s[0:1]
	v_lshl_add_u64 v[12:13], v[0:1], 4, v[2:3]
	global_store_dwordx4 v[12:13], v[8:11], off
	v_mov_b32_e32 v14, 0x110
	v_mad_u64_u32 v[12:13], s[2:3], s4, v14, v[12:13]
	v_accvgpr_read_b32 v8, a56
	v_accvgpr_read_b32 v10, a58
	;; [unrolled: 1-line block ×4, first 2 shown]
	s_waitcnt lgkmcnt(0)
	v_mul_f64 v[0:1], v[10:11], v[6:7]
	v_mul_f64 v[2:3], v[10:11], v[4:5]
	v_fmac_f64_e32 v[0:1], v[8:9], v[4:5]
	v_fma_f64 v[2:3], v[8:9], v[6:7], -v[2:3]
	ds_read_b128 v[4:7], v197 offset:544
	s_mul_i32 s2, s5, 0x110
	v_accvgpr_read_b32 v16, a24
	v_mul_f64 v[0:1], v[0:1], s[0:1]
	v_mul_f64 v[2:3], v[2:3], s[0:1]
	v_add_u32_e32 v13, s2, v13
	v_accvgpr_read_b32 v18, a26
	v_accvgpr_read_b32 v19, a27
	global_store_dwordx4 v[12:13], v[0:3], off
	ds_read_b128 v[0:3], v197 offset:816
	v_accvgpr_read_b32 v17, a25
	s_waitcnt lgkmcnt(1)
	v_mul_f64 v[8:9], v[18:19], v[6:7]
	v_fmac_f64_e32 v[8:9], v[16:17], v[4:5]
	v_mul_f64 v[4:5], v[18:19], v[4:5]
	v_fma_f64 v[4:5], v[16:17], v[6:7], -v[4:5]
	v_mad_u64_u32 v[12:13], s[6:7], s4, v14, v[12:13]
	v_mul_f64 v[8:9], v[8:9], s[0:1]
	v_mul_f64 v[10:11], v[4:5], s[0:1]
	v_add_u32_e32 v13, s2, v13
	global_store_dwordx4 v[12:13], v[8:11], off
	v_accvgpr_read_b32 v6, a60
	v_accvgpr_read_b32 v7, a61
	;; [unrolled: 1-line block ×4, first 2 shown]
	s_waitcnt lgkmcnt(0)
	v_mul_f64 v[4:5], v[8:9], v[2:3]
	v_fmac_f64_e32 v[4:5], v[6:7], v[0:1]
	v_mul_f64 v[0:1], v[8:9], v[0:1]
	v_fma_f64 v[0:1], v[6:7], v[2:3], -v[0:1]
	v_mul_f64 v[6:7], v[0:1], s[0:1]
	ds_read_b128 v[0:3], v197 offset:1088
	v_mad_u64_u32 v[12:13], s[6:7], s4, v14, v[12:13]
	v_accvgpr_read_b32 v16, a28
	v_mul_f64 v[4:5], v[4:5], s[0:1]
	v_add_u32_e32 v13, s2, v13
	v_accvgpr_read_b32 v18, a30
	v_accvgpr_read_b32 v19, a31
	global_store_dwordx4 v[12:13], v[4:7], off
	ds_read_b128 v[4:7], v197 offset:1360
	v_accvgpr_read_b32 v17, a29
	s_waitcnt lgkmcnt(1)
	v_mul_f64 v[8:9], v[18:19], v[2:3]
	v_fmac_f64_e32 v[8:9], v[16:17], v[0:1]
	v_mul_f64 v[0:1], v[18:19], v[0:1]
	v_fma_f64 v[0:1], v[16:17], v[2:3], -v[0:1]
	v_mad_u64_u32 v[12:13], s[6:7], s4, v14, v[12:13]
	v_mul_f64 v[8:9], v[8:9], s[0:1]
	v_mul_f64 v[10:11], v[0:1], s[0:1]
	v_add_u32_e32 v13, s2, v13
	global_store_dwordx4 v[12:13], v[8:11], off
	v_mad_u64_u32 v[12:13], s[6:7], s4, v14, v[12:13]
	s_nop 0
	v_accvgpr_read_b32 v8, a52
	v_accvgpr_read_b32 v10, a54
	;; [unrolled: 1-line block ×4, first 2 shown]
	s_waitcnt lgkmcnt(0)
	v_mul_f64 v[0:1], v[10:11], v[6:7]
	v_mul_f64 v[2:3], v[10:11], v[4:5]
	v_fmac_f64_e32 v[0:1], v[8:9], v[4:5]
	v_fma_f64 v[2:3], v[8:9], v[6:7], -v[2:3]
	ds_read_b128 v[4:7], v197 offset:1632
	v_accvgpr_read_b32 v16, a20
	v_mul_f64 v[0:1], v[0:1], s[0:1]
	v_mul_f64 v[2:3], v[2:3], s[0:1]
	v_add_u32_e32 v13, s2, v13
	v_accvgpr_read_b32 v18, a22
	v_accvgpr_read_b32 v19, a23
	global_store_dwordx4 v[12:13], v[0:3], off
	ds_read_b128 v[0:3], v197 offset:1904
	v_accvgpr_read_b32 v17, a21
	s_waitcnt lgkmcnt(1)
	v_mul_f64 v[8:9], v[18:19], v[6:7]
	v_fmac_f64_e32 v[8:9], v[16:17], v[4:5]
	v_mul_f64 v[4:5], v[18:19], v[4:5]
	v_fma_f64 v[4:5], v[16:17], v[6:7], -v[4:5]
	v_mad_u64_u32 v[12:13], s[6:7], s4, v14, v[12:13]
	v_mul_f64 v[8:9], v[8:9], s[0:1]
	v_mul_f64 v[10:11], v[4:5], s[0:1]
	v_add_u32_e32 v13, s2, v13
	global_store_dwordx4 v[12:13], v[8:11], off
	v_accvgpr_read_b32 v6, a48
	v_accvgpr_read_b32 v7, a49
	;; [unrolled: 1-line block ×4, first 2 shown]
	s_waitcnt lgkmcnt(0)
	v_mul_f64 v[4:5], v[8:9], v[2:3]
	v_fmac_f64_e32 v[4:5], v[6:7], v[0:1]
	v_mul_f64 v[0:1], v[8:9], v[0:1]
	v_fma_f64 v[0:1], v[6:7], v[2:3], -v[0:1]
	v_mul_f64 v[6:7], v[0:1], s[0:1]
	ds_read_b128 v[0:3], v197 offset:2176
	v_mad_u64_u32 v[12:13], s[6:7], s4, v14, v[12:13]
	v_accvgpr_read_b32 v19, a15
	v_mul_f64 v[4:5], v[4:5], s[0:1]
	v_add_u32_e32 v13, s2, v13
	v_accvgpr_read_b32 v18, a14
	global_store_dwordx4 v[12:13], v[4:7], off
	ds_read_b128 v[4:7], v197 offset:2448
	v_accvgpr_read_b32 v17, a13
	v_accvgpr_read_b32 v16, a12
	s_waitcnt lgkmcnt(1)
	v_mul_f64 v[8:9], v[18:19], v[2:3]
	v_fmac_f64_e32 v[8:9], v[16:17], v[0:1]
	v_mul_f64 v[0:1], v[18:19], v[0:1]
	v_fma_f64 v[0:1], v[16:17], v[2:3], -v[0:1]
	v_mad_u64_u32 v[12:13], s[6:7], s4, v14, v[12:13]
	v_mul_f64 v[8:9], v[8:9], s[0:1]
	v_mul_f64 v[10:11], v[0:1], s[0:1]
	v_add_u32_e32 v13, s2, v13
	global_store_dwordx4 v[12:13], v[8:11], off
	v_mad_u64_u32 v[12:13], s[6:7], s4, v14, v[12:13]
	s_nop 0
	v_accvgpr_read_b32 v8, a44
	v_accvgpr_read_b32 v10, a46
	v_accvgpr_read_b32 v11, a47
	v_accvgpr_read_b32 v9, a45
	s_waitcnt lgkmcnt(0)
	v_mul_f64 v[0:1], v[10:11], v[6:7]
	v_mul_f64 v[2:3], v[10:11], v[4:5]
	v_fmac_f64_e32 v[0:1], v[8:9], v[4:5]
	v_fma_f64 v[2:3], v[8:9], v[6:7], -v[2:3]
	ds_read_b128 v[4:7], v197 offset:2720
	v_accvgpr_read_b32 v19, a11
	v_mul_f64 v[0:1], v[0:1], s[0:1]
	v_mul_f64 v[2:3], v[2:3], s[0:1]
	v_add_u32_e32 v13, s2, v13
	v_accvgpr_read_b32 v18, a10
	global_store_dwordx4 v[12:13], v[0:3], off
	ds_read_b128 v[0:3], v197 offset:2992
	v_accvgpr_read_b32 v17, a9
	v_accvgpr_read_b32 v16, a8
	s_waitcnt lgkmcnt(1)
	v_mul_f64 v[8:9], v[18:19], v[6:7]
	v_fmac_f64_e32 v[8:9], v[16:17], v[4:5]
	v_mul_f64 v[4:5], v[18:19], v[4:5]
	v_fma_f64 v[4:5], v[16:17], v[6:7], -v[4:5]
	v_mad_u64_u32 v[12:13], s[6:7], s4, v14, v[12:13]
	v_mul_f64 v[8:9], v[8:9], s[0:1]
	v_mul_f64 v[10:11], v[4:5], s[0:1]
	v_add_u32_e32 v13, s2, v13
	global_store_dwordx4 v[12:13], v[8:11], off
	v_accvgpr_read_b32 v6, a40
	v_accvgpr_read_b32 v7, a41
	;; [unrolled: 1-line block ×4, first 2 shown]
	s_waitcnt lgkmcnt(0)
	v_mul_f64 v[4:5], v[8:9], v[2:3]
	v_fmac_f64_e32 v[4:5], v[6:7], v[0:1]
	v_mul_f64 v[0:1], v[8:9], v[0:1]
	v_fma_f64 v[0:1], v[6:7], v[2:3], -v[0:1]
	v_mul_f64 v[6:7], v[0:1], s[0:1]
	ds_read_b128 v[0:3], v197 offset:3264
	v_mad_u64_u32 v[12:13], s[6:7], s4, v14, v[12:13]
	v_accvgpr_read_b32 v19, a7
	v_mul_f64 v[4:5], v[4:5], s[0:1]
	v_add_u32_e32 v13, s2, v13
	v_accvgpr_read_b32 v18, a6
	global_store_dwordx4 v[12:13], v[4:7], off
	ds_read_b128 v[4:7], v197 offset:3536
	v_accvgpr_read_b32 v17, a5
	v_accvgpr_read_b32 v16, a4
	s_waitcnt lgkmcnt(1)
	v_mul_f64 v[8:9], v[18:19], v[2:3]
	v_fmac_f64_e32 v[8:9], v[16:17], v[0:1]
	v_mul_f64 v[0:1], v[18:19], v[0:1]
	v_fma_f64 v[0:1], v[16:17], v[2:3], -v[0:1]
	v_mad_u64_u32 v[12:13], s[6:7], s4, v14, v[12:13]
	v_mul_f64 v[8:9], v[8:9], s[0:1]
	v_mul_f64 v[10:11], v[0:1], s[0:1]
	v_add_u32_e32 v13, s2, v13
	global_store_dwordx4 v[12:13], v[8:11], off
	v_mad_u64_u32 v[12:13], s[6:7], s4, v14, v[12:13]
	s_nop 0
	v_accvgpr_read_b32 v8, a36
	v_accvgpr_read_b32 v10, a38
	;; [unrolled: 1-line block ×4, first 2 shown]
	s_waitcnt lgkmcnt(0)
	v_mul_f64 v[0:1], v[10:11], v[6:7]
	v_mul_f64 v[2:3], v[10:11], v[4:5]
	v_fmac_f64_e32 v[0:1], v[8:9], v[4:5]
	v_fma_f64 v[2:3], v[8:9], v[6:7], -v[2:3]
	ds_read_b128 v[4:7], v197 offset:3808
	v_accvgpr_read_b32 v19, a3
	v_mul_f64 v[0:1], v[0:1], s[0:1]
	v_mul_f64 v[2:3], v[2:3], s[0:1]
	v_add_u32_e32 v13, s2, v13
	v_accvgpr_read_b32 v18, a2
	global_store_dwordx4 v[12:13], v[0:3], off
	ds_read_b128 v[0:3], v197 offset:4080
	v_accvgpr_read_b32 v17, a1
	v_accvgpr_read_b32 v16, a0
	s_waitcnt lgkmcnt(1)
	v_mul_f64 v[8:9], v[18:19], v[6:7]
	v_fmac_f64_e32 v[8:9], v[16:17], v[4:5]
	v_mul_f64 v[4:5], v[18:19], v[4:5]
	v_fma_f64 v[4:5], v[16:17], v[6:7], -v[4:5]
	v_mad_u64_u32 v[12:13], s[6:7], s4, v14, v[12:13]
	v_mul_f64 v[8:9], v[8:9], s[0:1]
	v_mul_f64 v[10:11], v[4:5], s[0:1]
	v_add_u32_e32 v13, s2, v13
	global_store_dwordx4 v[12:13], v[8:11], off
	v_accvgpr_read_b32 v6, a32
	v_accvgpr_read_b32 v7, a33
	;; [unrolled: 1-line block ×4, first 2 shown]
	s_waitcnt lgkmcnt(0)
	v_mul_f64 v[4:5], v[8:9], v[2:3]
	v_fmac_f64_e32 v[4:5], v[6:7], v[0:1]
	v_mul_f64 v[0:1], v[8:9], v[0:1]
	v_fma_f64 v[0:1], v[6:7], v[2:3], -v[0:1]
	v_mul_f64 v[4:5], v[4:5], s[0:1]
	v_mul_f64 v[6:7], v[0:1], s[0:1]
	v_mad_u64_u32 v[0:1], s[0:1], s4, v14, v[12:13]
	v_add_u32_e32 v1, s2, v1
	global_store_dwordx4 v[0:1], v[4:7], off
.LBB0_10:
	s_endpgm
	.section	.rodata,"a",@progbits
	.p2align	6, 0x0
	.amdhsa_kernel bluestein_single_back_len272_dim1_dp_op_CI_CI
		.amdhsa_group_segment_fixed_size 30464
		.amdhsa_private_segment_fixed_size 0
		.amdhsa_kernarg_size 104
		.amdhsa_user_sgpr_count 2
		.amdhsa_user_sgpr_dispatch_ptr 0
		.amdhsa_user_sgpr_queue_ptr 0
		.amdhsa_user_sgpr_kernarg_segment_ptr 1
		.amdhsa_user_sgpr_dispatch_id 0
		.amdhsa_user_sgpr_kernarg_preload_length 0
		.amdhsa_user_sgpr_kernarg_preload_offset 0
		.amdhsa_user_sgpr_private_segment_size 0
		.amdhsa_uses_dynamic_stack 0
		.amdhsa_enable_private_segment 0
		.amdhsa_system_sgpr_workgroup_id_x 1
		.amdhsa_system_sgpr_workgroup_id_y 0
		.amdhsa_system_sgpr_workgroup_id_z 0
		.amdhsa_system_sgpr_workgroup_info 0
		.amdhsa_system_vgpr_workitem_id 0
		.amdhsa_next_free_vgpr 382
		.amdhsa_next_free_sgpr 60
		.amdhsa_accum_offset 256
		.amdhsa_reserve_vcc 1
		.amdhsa_float_round_mode_32 0
		.amdhsa_float_round_mode_16_64 0
		.amdhsa_float_denorm_mode_32 3
		.amdhsa_float_denorm_mode_16_64 3
		.amdhsa_dx10_clamp 1
		.amdhsa_ieee_mode 1
		.amdhsa_fp16_overflow 0
		.amdhsa_tg_split 0
		.amdhsa_exception_fp_ieee_invalid_op 0
		.amdhsa_exception_fp_denorm_src 0
		.amdhsa_exception_fp_ieee_div_zero 0
		.amdhsa_exception_fp_ieee_overflow 0
		.amdhsa_exception_fp_ieee_underflow 0
		.amdhsa_exception_fp_ieee_inexact 0
		.amdhsa_exception_int_div_zero 0
	.end_amdhsa_kernel
	.text
.Lfunc_end0:
	.size	bluestein_single_back_len272_dim1_dp_op_CI_CI, .Lfunc_end0-bluestein_single_back_len272_dim1_dp_op_CI_CI
                                        ; -- End function
	.section	.AMDGPU.csdata,"",@progbits
; Kernel info:
; codeLenInByte = 21776
; NumSgprs: 66
; NumVgprs: 256
; NumAgprs: 126
; TotalNumVgprs: 382
; ScratchSize: 0
; MemoryBound: 0
; FloatMode: 240
; IeeeMode: 1
; LDSByteSize: 30464 bytes/workgroup (compile time only)
; SGPRBlocks: 8
; VGPRBlocks: 47
; NumSGPRsForWavesPerEU: 66
; NumVGPRsForWavesPerEU: 382
; AccumOffset: 256
; Occupancy: 1
; WaveLimiterHint : 1
; COMPUTE_PGM_RSRC2:SCRATCH_EN: 0
; COMPUTE_PGM_RSRC2:USER_SGPR: 2
; COMPUTE_PGM_RSRC2:TRAP_HANDLER: 0
; COMPUTE_PGM_RSRC2:TGID_X_EN: 1
; COMPUTE_PGM_RSRC2:TGID_Y_EN: 0
; COMPUTE_PGM_RSRC2:TGID_Z_EN: 0
; COMPUTE_PGM_RSRC2:TIDIG_COMP_CNT: 0
; COMPUTE_PGM_RSRC3_GFX90A:ACCUM_OFFSET: 63
; COMPUTE_PGM_RSRC3_GFX90A:TG_SPLIT: 0
	.text
	.p2alignl 6, 3212836864
	.fill 256, 4, 3212836864
	.type	__hip_cuid_349682cbba882a11,@object ; @__hip_cuid_349682cbba882a11
	.section	.bss,"aw",@nobits
	.globl	__hip_cuid_349682cbba882a11
__hip_cuid_349682cbba882a11:
	.byte	0                               ; 0x0
	.size	__hip_cuid_349682cbba882a11, 1

	.ident	"AMD clang version 19.0.0git (https://github.com/RadeonOpenCompute/llvm-project roc-6.4.0 25133 c7fe45cf4b819c5991fe208aaa96edf142730f1d)"
	.section	".note.GNU-stack","",@progbits
	.addrsig
	.addrsig_sym __hip_cuid_349682cbba882a11
	.amdgpu_metadata
---
amdhsa.kernels:
  - .agpr_count:     126
    .args:
      - .actual_access:  read_only
        .address_space:  global
        .offset:         0
        .size:           8
        .value_kind:     global_buffer
      - .actual_access:  read_only
        .address_space:  global
        .offset:         8
        .size:           8
        .value_kind:     global_buffer
      - .actual_access:  read_only
        .address_space:  global
        .offset:         16
        .size:           8
        .value_kind:     global_buffer
      - .actual_access:  read_only
        .address_space:  global
        .offset:         24
        .size:           8
        .value_kind:     global_buffer
      - .actual_access:  read_only
        .address_space:  global
        .offset:         32
        .size:           8
        .value_kind:     global_buffer
      - .offset:         40
        .size:           8
        .value_kind:     by_value
      - .address_space:  global
        .offset:         48
        .size:           8
        .value_kind:     global_buffer
      - .address_space:  global
        .offset:         56
        .size:           8
        .value_kind:     global_buffer
      - .address_space:  global
        .offset:         64
        .size:           8
        .value_kind:     global_buffer
      - .address_space:  global
        .offset:         72
        .size:           8
        .value_kind:     global_buffer
      - .offset:         80
        .size:           4
        .value_kind:     by_value
      - .address_space:  global
        .offset:         88
        .size:           8
        .value_kind:     global_buffer
      - .address_space:  global
        .offset:         96
        .size:           8
        .value_kind:     global_buffer
    .group_segment_fixed_size: 30464
    .kernarg_segment_align: 8
    .kernarg_segment_size: 104
    .language:       OpenCL C
    .language_version:
      - 2
      - 0
    .max_flat_workgroup_size: 119
    .name:           bluestein_single_back_len272_dim1_dp_op_CI_CI
    .private_segment_fixed_size: 0
    .sgpr_count:     66
    .sgpr_spill_count: 0
    .symbol:         bluestein_single_back_len272_dim1_dp_op_CI_CI.kd
    .uniform_work_group_size: 1
    .uses_dynamic_stack: false
    .vgpr_count:     382
    .vgpr_spill_count: 0
    .wavefront_size: 64
amdhsa.target:   amdgcn-amd-amdhsa--gfx950
amdhsa.version:
  - 1
  - 2
...

	.end_amdgpu_metadata
